;; amdgpu-corpus repo=ROCm/rocFFT kind=compiled arch=gfx950 opt=O3
	.text
	.amdgcn_target "amdgcn-amd-amdhsa--gfx950"
	.amdhsa_code_object_version 6
	.protected	fft_rtc_back_len289_factors_17_17_wgs_119_tpt_17_sp_op_CI_CI_sbrc_erc_z_xy_aligned_dirReg ; -- Begin function fft_rtc_back_len289_factors_17_17_wgs_119_tpt_17_sp_op_CI_CI_sbrc_erc_z_xy_aligned_dirReg
	.globl	fft_rtc_back_len289_factors_17_17_wgs_119_tpt_17_sp_op_CI_CI_sbrc_erc_z_xy_aligned_dirReg
	.p2align	8
	.type	fft_rtc_back_len289_factors_17_17_wgs_119_tpt_17_sp_op_CI_CI_sbrc_erc_z_xy_aligned_dirReg,@function
fft_rtc_back_len289_factors_17_17_wgs_119_tpt_17_sp_op_CI_CI_sbrc_erc_z_xy_aligned_dirReg: ; @fft_rtc_back_len289_factors_17_17_wgs_119_tpt_17_sp_op_CI_CI_sbrc_erc_z_xy_aligned_dirReg
; %bb.0:
	s_load_dwordx8 s[4:11], s[0:1], 0x0
	v_mov_b32_e32 v82, v0
	v_lshl_add_u32 v42, v82, 3, 0
	s_mov_b32 s28, 0xbf2c7751
	s_mov_b32 s44, 0xbf65296c
	s_waitcnt lgkmcnt(0)
	s_load_dwordx4 s[12:15], s[8:9], 0x8
	s_load_dwordx4 s[20:23], s[10:11], 0x0
	s_mov_b32 s40, 0xbf7ee86f
	s_mov_b32 s26, 0xbf4c4adb
	;; [unrolled: 1-line block ×3, first 2 shown]
	s_waitcnt lgkmcnt(0)
	s_add_i32 s3, s12, -1
	s_load_dword s12, s[10:11], 0x10
	s_mul_hi_u32 s8, s3, 0x24924925
	s_sub_i32 s3, s3, s8
	s_lshr_b32 s3, s3, 1
	s_add_i32 s3, s3, s8
	s_lshr_b32 s3, s3, 2
	s_add_i32 s8, s3, 1
	s_mul_i32 s9, s8, s14
	v_cvt_f32_u32_e32 v1, s9
	v_cvt_f32_u32_e32 v0, s8
	s_sub_i32 s13, 0, s9
	s_mov_b32 s34, 0xbf06c442
	v_rcp_iflag_f32_e32 v1, v1
	v_rcp_iflag_f32_e32 v0, v0
	s_mov_b32 s30, 0xbf59a7d5
	s_mov_b32 s38, 0xbe3c28d5
	v_mul_f32_e32 v1, 0x4f7ffffe, v1
	v_cvt_u32_f32_e32 v1, v1
	v_mul_f32_e32 v0, 0x4f7ffffe, v0
	v_cvt_u32_f32_e32 v0, v0
	s_mov_b32 s36, 0xbf7ba420
	v_readfirstlane_b32 s15, v1
	s_mul_i32 s13, s13, s15
	s_mul_hi_u32 s13, s15, s13
	s_add_i32 s15, s15, s13
	s_mul_hi_u32 s13, s2, s15
	s_mul_i32 s15, s13, s9
	s_sub_i32 s15, s2, s15
	s_add_i32 s16, s13, 1
	s_sub_i32 s17, s15, s9
	s_cmp_ge_u32 s15, s9
	s_cselect_b32 s13, s16, s13
	s_cselect_b32 s15, s17, s15
	s_add_i32 s16, s13, 1
	s_cmp_ge_u32 s15, s9
	v_readfirstlane_b32 s14, v0
	s_cselect_b32 s23, s16, s13
	s_not_b32 s3, s3
	s_mul_i32 s3, s3, s14
	s_mul_i32 s9, s23, s9
	s_mul_hi_u32 s3, s14, s3
	s_sub_i32 s9, s2, s9
	s_add_i32 s14, s14, s3
	s_mul_hi_u32 s3, s9, s14
	s_mul_i32 s13, s3, s8
	s_sub_i32 s9, s9, s13
	s_add_i32 s15, s3, 1
	s_sub_i32 s13, s9, s8
	s_cmp_ge_u32 s9, s8
	s_cselect_b32 s3, s15, s3
	s_cselect_b32 s9, s13, s9
	s_add_i32 s13, s3, 1
	s_cmp_ge_u32 s9, s8
	s_cselect_b32 s25, s13, s3
	s_mul_hi_u32 s3, s2, s14
	s_mul_i32 s3, s3, s8
	s_sub_i32 s2, s2, s3
	s_sub_i32 s3, s2, s8
	s_cmp_ge_u32 s2, s8
	s_cselect_b32 s9, s3, s2
	s_load_dwordx2 s[2:3], s[0:1], 0x20
	s_sub_i32 s13, s9, s8
	s_cmp_ge_u32 s9, s8
	s_cselect_b32 s27, s13, s9
	s_waitcnt lgkmcnt(0)
	s_mul_i32 s8, s25, s12
	s_load_dwordx4 s[12:15], s[0:1], 0x58
	s_load_dwordx4 s[16:19], s[2:3], 0x0
	s_mul_i32 s27, s27, 7
	s_mul_i32 s0, s27, s22
	s_add_i32 s8, s0, s8
	s_lshl_b64 s[6:7], s[6:7], 3
	s_waitcnt lgkmcnt(0)
	s_mul_i32 s0, s17, s27
	s_mul_hi_u32 s1, s16, s27
	s_add_i32 s1, s1, s0
	s_add_u32 s10, s10, s6
	s_addc_u32 s11, s11, s7
	s_load_dwordx2 s[10:11], s[10:11], 0x0
	v_add_u16_e32 v0, 0x77, v82
	s_load_dword s19, s[2:3], 0x10
	s_mov_b32 s54, 0x3f06c442
	s_mov_b32 s50, 0x3f763a35
	s_waitcnt lgkmcnt(0)
	s_mul_i32 s0, s11, s23
	s_mul_hi_u32 s9, s10, s23
	s_add_i32 s11, s9, s0
	s_add_u32 s2, s2, s6
	s_addc_u32 s3, s3, s7
	s_load_dwordx2 s[2:3], s[2:3], 0x0
	v_mad_u64_u32 v[2:3], s[6:7], s20, v82, 0
	v_mov_b32_e32 v4, v3
	s_mul_i32 s10, s10, s23
	s_waitcnt lgkmcnt(0)
	s_mul_i32 s0, s3, s23
	s_mul_hi_u32 s3, s2, s23
	v_mad_u64_u32 v[4:5], s[6:7], s21, v82, v[4:5]
	s_add_i32 s3, s3, s0
	s_lshl_b64 s[6:7], s[10:11], 3
	s_mov_b32 s9, 0
	s_add_u32 s0, s12, s6
	s_addc_u32 s10, s13, s7
	s_lshl_b64 s[6:7], s[8:9], 3
	s_add_u32 s6, s0, s6
	v_mov_b32_e32 v3, v4
	s_addc_u32 s7, s10, s7
	v_mad_u64_u32 v[4:5], s[10:11], s20, v0, 0
	s_mov_b32 s0, 0x16500ee
	v_lshl_add_u64 v[14:15], v[2:3], 3, s[6:7]
	v_mov_b32_e32 v3, 0
	v_mov_b32_e32 v2, v5
	v_pk_add_u16 v1, v82, s0 op_sel_hi:[0,1]
	v_mad_u64_u32 v[6:7], s[10:11], s21, v0, v[2:3]
	v_and_b32_e32 v2, 0x1ff, v1
	v_mul_u32_u24_e32 v2, 0x717, v2
	v_lshrrev_b32_e32 v40, 19, v2
	v_mul_lo_u16_e32 v2, 0x121, v40
	v_mov_b32_e32 v5, v6
	v_sub_u16_e32 v41, v1, v2
	v_lshl_add_u64 v[16:17], v[4:5], 3, s[6:7]
	v_mad_u64_u32 v[4:5], s[10:11], s20, v41, 0
	v_mov_b32_e32 v2, v5
	v_mad_u64_u32 v[6:7], s[10:11], s21, v41, v[2:3]
	v_mov_b32_e32 v5, v6
	v_mul_lo_u32 v2, s22, v40
	v_lshl_add_u64 v[4:5], v[4:5], 3, s[6:7]
	s_movk_i32 s12, 0x717
	s_mov_b32 s10, 0x25301dc
	v_lshl_add_u64 v[18:19], v[2:3], 3, v[4:5]
	v_pk_add_u16 v21, v82, s10 op_sel_hi:[0,1]
	v_mul_u32_u24_sdwa v2, v1, s12 dst_sel:DWORD dst_unused:UNUSED_PAD src0_sel:WORD_1 src1_sel:DWORD
	v_and_b32_e32 v4, 0x3ff, v21
	v_lshrrev_b32_e32 v43, 19, v2
	v_mul_u32_u24_e32 v2, 0x717, v4
	v_mul_lo_u16_e32 v4, 0x121, v43
	v_lshrrev_b32_e32 v44, 19, v2
	v_sub_u16_sdwa v1, v1, v4 dst_sel:DWORD dst_unused:UNUSED_PAD src0_sel:WORD_1 src1_sel:DWORD
	v_mul_lo_u16_e32 v2, 0x121, v44
	v_mad_u64_u32 v[4:5], s[10:11], s20, v1, 0
	v_sub_u16_e32 v45, v21, v2
	v_mov_b32_e32 v2, v5
	v_mad_u64_u32 v[6:7], s[10:11], s21, v1, v[2:3]
	v_mov_b32_e32 v5, v6
	v_lshl_add_u64 v[4:5], v[4:5], 3, s[6:7]
	v_mul_lo_u32 v2, s22, v43
	v_lshl_add_u64 v[22:23], v[2:3], 3, v[4:5]
	v_mul_u32_u24_sdwa v2, v21, s12 dst_sel:DWORD dst_unused:UNUSED_PAD src0_sel:WORD_1 src1_sel:DWORD
	v_mad_u64_u32 v[12:13], s[10:11], s20, v45, 0
	v_lshrrev_b32_e32 v46, 19, v2
	v_mov_b32_e32 v20, v13
	v_mul_lo_u16_e32 v2, 0x121, v46
	global_load_dwordx2 v[6:7], v[14:15], off
	global_load_dwordx2 v[8:9], v[16:17], off
	;; [unrolled: 1-line block ×4, first 2 shown]
	v_mad_u64_u32 v[14:15], s[10:11], s21, v45, v[20:21]
	v_sub_u16_sdwa v47, v21, v2 dst_sel:DWORD dst_unused:UNUSED_PAD src0_sel:WORD_1 src1_sel:DWORD
	v_mov_b32_e32 v13, v14
	v_mad_u64_u32 v[14:15], s[10:11], s20, v47, 0
	v_mov_b32_e32 v2, v15
	v_mad_u64_u32 v[16:17], s[10:11], s21, v47, v[2:3]
	s_mov_b32 s10, 0x34102ca
	s_nop 0
	v_pk_add_u16 v20, v82, s10 op_sel_hi:[0,1]
	v_and_b32_e32 v2, 0x3ff, v20
	v_mul_u32_u24_e32 v2, 0x717, v2
	v_lshrrev_b32_e32 v48, 19, v2
	v_mul_lo_u16_e32 v2, 0x121, v48
	v_sub_u16_e32 v49, v20, v2
	v_mov_b32_e32 v15, v16
	v_mad_u64_u32 v[16:17], s[10:11], s20, v49, 0
	v_mov_b32_e32 v2, v17
	v_mad_u64_u32 v[18:19], s[10:11], s21, v49, v[2:3]
	v_mul_u32_u24_sdwa v2, v20, s12 dst_sel:DWORD dst_unused:UNUSED_PAD src0_sel:WORD_1 src1_sel:DWORD
	v_lshrrev_b32_e32 v50, 19, v2
	v_mul_lo_u16_e32 v2, 0x121, v50
	v_sub_u16_sdwa v51, v20, v2 dst_sel:DWORD dst_unused:UNUSED_PAD src0_sel:WORD_1 src1_sel:DWORD
	v_mov_b32_e32 v17, v18
	v_mad_u64_u32 v[18:19], s[10:11], s20, v51, 0
	v_mov_b32_e32 v2, v19
	v_mad_u64_u32 v[20:21], s[10:11], s21, v51, v[2:3]
	v_add_u16_e32 v2, 0x3b8, v82
	v_mov_b32_e32 v19, v20
	v_mul_u32_u24_e32 v20, 0x717, v2
	v_lshrrev_b32_e32 v52, 19, v20
	v_mul_lo_u16_e32 v20, 0x121, v52
	v_sub_u16_e32 v53, v2, v20
	v_mad_u64_u32 v[20:21], s[10:11], s20, v53, 0
	v_mov_b32_e32 v2, v21
	v_mad_u64_u32 v[22:23], s[10:11], s21, v53, v[2:3]
	v_add_u16_e32 v2, 0x42f, v82
	v_mov_b32_e32 v21, v22
	v_mul_u32_u24_e32 v22, 0x717, v2
	v_lshrrev_b32_e32 v54, 19, v22
	v_mul_lo_u16_e32 v22, 0x121, v54
	v_sub_u16_e32 v55, v2, v22
	v_mad_u64_u32 v[22:23], s[10:11], s20, v55, 0
	v_mov_b32_e32 v2, v23
	v_mad_u64_u32 v[24:25], s[10:11], s21, v55, v[2:3]
	v_add_u16_e32 v2, 0x4a6, v82
	v_mov_b32_e32 v23, v24
	v_mul_u32_u24_e32 v24, 0x717, v2
	v_lshrrev_b32_e32 v56, 19, v24
	v_mul_lo_u16_e32 v24, 0x121, v56
	v_sub_u16_e32 v57, v2, v24
	v_mad_u64_u32 v[24:25], s[10:11], s20, v57, 0
	v_mov_b32_e32 v2, v25
	v_mad_u64_u32 v[26:27], s[10:11], s21, v57, v[2:3]
	v_add_u16_e32 v2, 0x51d, v82
	v_mov_b32_e32 v25, v26
	v_mul_u32_u24_e32 v26, 0x717, v2
	v_lshrrev_b32_e32 v58, 19, v26
	v_mul_lo_u16_e32 v26, 0x121, v58
	v_sub_u16_e32 v59, v2, v26
	v_mad_u64_u32 v[26:27], s[10:11], s20, v59, 0
	v_mov_b32_e32 v2, v27
	v_mad_u64_u32 v[28:29], s[10:11], s21, v59, v[2:3]
	v_add_u16_e32 v2, 0x594, v82
	v_mov_b32_e32 v27, v28
	v_mul_u32_u24_e32 v28, 0x717, v2
	v_lshrrev_b32_e32 v60, 19, v28
	v_mul_lo_u16_e32 v28, 0x121, v60
	v_sub_u16_e32 v61, v2, v28
	v_mad_u64_u32 v[28:29], s[10:11], s20, v61, 0
	v_mov_b32_e32 v2, v29
	v_mad_u64_u32 v[30:31], s[10:11], s21, v61, v[2:3]
	v_add_u16_e32 v2, 0x60b, v82
	v_mov_b32_e32 v29, v30
	v_mul_u32_u24_e32 v30, 0x717, v2
	v_lshrrev_b32_e32 v62, 19, v30
	v_mul_lo_u16_e32 v30, 0x121, v62
	v_sub_u16_e32 v63, v2, v30
	v_mad_u64_u32 v[30:31], s[10:11], s20, v63, 0
	v_mov_b32_e32 v2, v31
	v_mad_u64_u32 v[32:33], s[10:11], s21, v63, v[2:3]
	v_add_u16_e32 v2, 0x682, v82
	v_mov_b32_e32 v31, v32
	v_mul_u32_u24_e32 v32, 0x717, v2
	v_lshrrev_b32_e32 v64, 19, v32
	v_mul_lo_u16_e32 v32, 0x121, v64
	v_sub_u16_e32 v65, v2, v32
	v_mad_u64_u32 v[32:33], s[10:11], s20, v65, 0
	v_mov_b32_e32 v2, v33
	v_mad_u64_u32 v[34:35], s[10:11], s21, v65, v[2:3]
	v_add_u16_e32 v2, 0x6f9, v82
	v_mov_b32_e32 v33, v34
	v_mul_u32_u24_e32 v34, 0x717, v2
	v_lshrrev_b32_e32 v66, 19, v34
	v_mul_lo_u16_e32 v34, 0x121, v66
	v_sub_u16_e32 v67, v2, v34
	v_mad_u64_u32 v[34:35], s[10:11], s20, v67, 0
	v_mov_b32_e32 v2, v35
	v_mad_u64_u32 v[36:37], s[10:11], s21, v67, v[2:3]
	v_add_u16_e32 v2, 0x770, v82
	v_mov_b32_e32 v35, v36
	v_mul_u32_u24_e32 v36, 0x717, v2
	v_lshrrev_b32_e32 v68, 19, v36
	v_mul_lo_u16_e32 v36, 0x121, v68
	v_sub_u16_e32 v69, v2, v36
	v_mul_lo_u32 v2, s22, v44
	v_lshl_add_u64 v[12:13], v[12:13], 3, s[6:7]
	v_lshl_add_u64 v[12:13], v[2:3], 3, v[12:13]
	v_mul_lo_u32 v2, s22, v46
	global_load_dwordx2 v[12:13], v[12:13], off
	v_lshl_add_u64 v[14:15], v[14:15], 3, s[6:7]
	v_lshl_add_u64 v[14:15], v[2:3], 3, v[14:15]
	global_load_dwordx2 v[14:15], v[14:15], off
	v_mul_lo_u32 v2, s22, v48
	v_lshl_add_u64 v[16:17], v[16:17], 3, s[6:7]
	v_lshl_add_u64 v[16:17], v[2:3], 3, v[16:17]
	global_load_dwordx2 v[16:17], v[16:17], off
	v_mul_lo_u32 v2, s22, v50
	;; [unrolled: 4-line block ×8, first 2 shown]
	v_lshl_add_u64 v[30:31], v[30:31], 3, s[6:7]
	v_lshl_add_u64 v[30:31], v[2:3], 3, v[30:31]
	global_load_dwordx2 v[30:31], v[30:31], off
	v_mad_u64_u32 v[36:37], s[10:11], s20, v69, 0
	v_mul_lo_u32 v2, s22, v64
	v_lshl_add_u64 v[32:33], v[32:33], 3, s[6:7]
	v_mov_b32_e32 v38, v37
	v_lshl_add_u64 v[32:33], v[2:3], 3, v[32:33]
	global_load_dwordx2 v[32:33], v[32:33], off
	v_mad_u64_u32 v[38:39], s[10:11], s21, v69, v[38:39]
	v_mul_lo_u32 v2, s22, v66
	v_lshl_add_u64 v[34:35], v[34:35], 3, s[6:7]
	v_mov_b32_e32 v37, v38
	v_lshl_add_u64 v[34:35], v[2:3], 3, v[34:35]
	global_load_dwordx2 v[34:35], v[34:35], off
	v_mul_lo_u32 v2, s22, v68
	v_lshl_add_u64 v[36:37], v[36:37], 3, s[6:7]
	v_lshl_add_u64 v[36:37], v[2:3], 3, v[36:37]
	global_load_dwordx2 v[36:37], v[36:37], off
	s_mov_b32 s0, 0x5040100
	s_movk_i32 s8, 0x910
	v_perm_b32 v2, v43, v40, s0
	v_pk_mul_lo_u16 v2, v2, s8 op_sel_hi:[1,0]
	v_lshlrev_b32_e32 v1, 3, v1
	v_and_b32_e32 v38, 0xfff0, v2
	v_lshrrev_b32_e32 v2, 16, v2
	v_lshlrev_b32_e32 v39, 3, v41
	v_add3_u32 v1, 0, v2, v1
	v_lshl_add_u32 v0, v0, 3, 0
	v_add3_u32 v38, 0, v38, v39
	s_waitcnt vmcnt(16)
	ds_write_b64 v42, v[6:7]
	s_waitcnt vmcnt(15)
	ds_write_b64 v0, v[8:9]
	;; [unrolled: 2-line block ×4, first 2 shown]
	v_perm_b32 v1, v46, v44, s0
	v_pk_mul_lo_u16 v1, v1, s8 op_sel_hi:[1,0]
	v_lshlrev_b32_e32 v4, 3, v45
	v_and_b32_e32 v2, 0xfff0, v1
	v_add3_u32 v2, 0, v2, v4
	v_lshrrev_b32_e32 v1, 16, v1
	v_lshlrev_b32_e32 v4, 3, v49
	v_mul_u32_u24_e32 v0, 0xf10, v82
	s_mov_b32 s6, 0x24924925
	v_add_u32_sdwa v6, s27, v0 dst_sel:DWORD dst_unused:UNUSED_PAD src0_sel:DWORD src1_sel:WORD_1
	v_mul_hi_u32 v7, v6, s6
	v_sub_u32_e32 v8, v6, v7
	v_lshrrev_b32_e32 v8, 1, v8
	s_waitcnt vmcnt(12)
	ds_write_b64 v2, v[12:13]
	v_lshlrev_b32_e32 v2, 3, v47
	v_add3_u32 v1, 0, v1, v2
	s_waitcnt vmcnt(11)
	ds_write_b64 v1, v[14:15]
	v_perm_b32 v1, v50, v48, s0
	v_pk_mul_lo_u16 v1, v1, s8 op_sel_hi:[1,0]
	v_add_u32_e32 v7, v8, v7
	v_and_b32_e32 v2, 0xfff0, v1
	v_add3_u32 v2, 0, v2, v4
	s_waitcnt vmcnt(10)
	ds_write_b64 v2, v[16:17]
	v_lshrrev_b32_e32 v1, 16, v1
	v_lshlrev_b32_e32 v2, 3, v51
	v_add3_u32 v1, 0, v1, v2
	s_waitcnt vmcnt(9)
	ds_write_b64 v1, v[18:19]
	v_mul_u32_u24_e32 v1, 0x910, v52
	v_lshlrev_b32_e32 v2, 3, v53
	v_add3_u32 v1, 0, v1, v2
	s_waitcnt vmcnt(8)
	ds_write_b64 v1, v[20:21]
	v_mul_u32_u24_e32 v1, 0x910, v54
	;; [unrolled: 5-line block ×7, first 2 shown]
	v_lshlrev_b32_e32 v2, 3, v65
	v_add3_u32 v1, 0, v1, v2
	v_lshlrev_b32_e32 v2, 3, v67
	s_waitcnt vmcnt(2)
	ds_write_b64 v1, v[32:33]
	v_mul_u32_u24_e32 v1, 0x910, v66
	v_add3_u32 v1, 0, v1, v2
	v_lshlrev_b32_e32 v2, 3, v69
	v_lshrrev_b32_e32 v7, 2, v7
	v_mul_lo_u32 v7, v7, 7
	v_sub_u32_e32 v6, v6, v7
	s_waitcnt vmcnt(1)
	ds_write_b64 v1, v[34:35]
	v_mul_u32_u24_e32 v1, 0x910, v68
	v_add3_u32 v1, 0, v1, v2
	v_mul_u32_u24_e32 v6, 0x122, v6
	s_waitcnt vmcnt(0)
	ds_write_b64 v1, v[36:37]
	v_mov_b32_e32 v1, 17
	v_mul_lo_u16_sdwa v0, v0, v1 dst_sel:DWORD dst_unused:UNUSED_PAD src0_sel:WORD_1 src1_sel:DWORD
	v_sub_u16_e32 v2, v82, v0
	v_lshlrev_b32_e32 v0, 3, v6
	v_lshlrev_b32_e32 v4, 3, v2
	v_add_u32_e32 v1, 0, v0
	v_add3_u32 v83, 0, v4, v0
	s_waitcnt lgkmcnt(0)
	s_barrier
	v_add_u32_e32 v6, v1, v4
	ds_read2_b64 v[8:11], v83 offset0:17 offset1:34
	ds_read2_b64 v[14:17], v83 offset0:119 offset1:136
	;; [unrolled: 1-line block ×5, first 2 shown]
	ds_read_b64 v[4:5], v6
	v_add_u32_e32 v0, 0x400, v83
	ds_read2_b64 v[30:33], v83 offset0:51 offset1:68
	ds_read2_b64 v[34:37], v0 offset0:127 offset1:144
	;; [unrolled: 1-line block ×3, first 2 shown]
	v_accvgpr_write_b32 a0, v6
	s_mov_b32 s10, 0xbeb8f4ab
	s_waitcnt lgkmcnt(3)
	v_pk_add_f32 v[6:7], v[4:5], v[8:9]
	s_waitcnt lgkmcnt(1)
	v_pk_add_f32 v[74:75], v[8:9], v[36:37] neg_lo:[0,1] neg_hi:[0,1]
	v_pk_add_f32 v[6:7], v[6:7], v[10:11]
	v_pk_add_f32 v[70:71], v[36:37], v[8:9]
	;; [unrolled: 1-line block ×3, first 2 shown]
	s_mov_b32 s8, 0x3f6eb680
	v_pk_add_f32 v[6:7], v[6:7], v[32:33]
	v_pk_mul_f32 v[8:9], v[74:75], s[10:11] op_sel_hi:[1,0]
	s_waitcnt lgkmcnt(0)
	v_pk_add_f32 v[6:7], v[6:7], v[38:39]
	v_pk_fma_f32 v[12:13], v[70:71], s[8:9], v[8:9] op_sel:[0,0,1] op_sel_hi:[1,0,0]
	v_pk_add_f32 v[6:7], v[6:7], v[40:41]
	v_pk_fma_f32 v[140:141], v[70:71], s[8:9], v[8:9] op_sel:[0,0,1] op_sel_hi:[1,0,0] neg_lo:[0,0,1] neg_hi:[0,0,1]
	v_pk_add_f32 v[6:7], v[6:7], v[14:15]
	v_accvgpr_write_b32 a1, v13
	v_pk_add_f32 v[6:7], v[6:7], v[16:17]
	v_mov_b32_e32 v13, v141
	v_pk_add_f32 v[6:7], v[6:7], v[18:19]
	v_pk_add_f32 v[84:85], v[10:11], v[34:35] neg_lo:[0,1] neg_hi:[0,1]
	v_pk_add_f32 v[6:7], v[6:7], v[20:21]
	v_pk_add_f32 v[80:81], v[34:35], v[10:11]
	;; [unrolled: 1-line block ×3, first 2 shown]
	s_mov_b32 s0, 0x3f3d2fb0
	v_pk_add_f32 v[6:7], v[6:7], v[24:25]
	v_pk_add_f32 v[92:93], v[30:31], v[28:29] neg_lo:[0,1] neg_hi:[0,1]
	v_pk_add_f32 v[6:7], v[6:7], v[26:27]
	v_pk_add_f32 v[86:87], v[28:29], v[30:31]
	;; [unrolled: 1-line block ×3, first 2 shown]
	s_mov_b32 s6, 0x3ee437d1
	v_pk_add_f32 v[6:7], v[6:7], v[34:35]
	v_pk_add_f32 v[100:101], v[32:33], v[26:27] neg_lo:[0,1] neg_hi:[0,1]
	v_pk_add_f32 v[42:43], v[6:7], v[36:37]
	v_pk_add_f32 v[36:37], v[4:5], v[12:13]
	v_pk_mul_f32 v[12:13], v[84:85], s[28:29] op_sel_hi:[1,0]
	v_pk_add_f32 v[130:131], v[18:19], v[16:17]
	v_pk_fma_f32 v[34:35], v[80:81], s[0:1], v[12:13] op_sel:[0,0,1] op_sel_hi:[1,0,0]
	v_pk_fma_f32 v[44:45], v[80:81], s[0:1], v[12:13] op_sel:[0,0,1] op_sel_hi:[1,0,0] neg_lo:[0,0,1] neg_hi:[0,0,1]
	v_pk_add_f32 v[132:133], v[16:17], v[18:19] neg_lo:[0,1] neg_hi:[0,1]
	v_pk_mul_f32 v[16:17], v[92:93], s[44:45] op_sel_hi:[1,0]
	v_accvgpr_write_b32 a3, v35
	v_mov_b32_e32 v35, v45
	v_pk_add_f32 v[98:99], v[26:27], v[32:33]
	v_pk_add_f32 v[126:127], v[20:21], v[14:15]
	v_pk_add_f32 v[128:129], v[14:15], v[20:21] neg_lo:[0,1] neg_hi:[0,1]
	v_pk_fma_f32 v[18:19], v[86:87], s[6:7], v[16:17] op_sel:[0,0,1] op_sel_hi:[1,0,0]
	v_pk_fma_f32 v[16:17], v[86:87], s[6:7], v[16:17] op_sel:[0,0,1] op_sel_hi:[1,0,0] neg_lo:[0,0,1] neg_hi:[0,0,1]
	s_mov_b32 s12, 0x3dbcf732
	v_pk_mul_f32 v[20:21], v[100:101], s[40:41] op_sel_hi:[1,0]
	v_pk_add_f32 v[34:35], v[34:35], v[36:37]
	v_pk_add_f32 v[106:107], v[24:25], v[38:39]
	v_pk_add_f32 v[112:113], v[38:39], v[24:25] neg_lo:[0,1] neg_hi:[0,1]
	v_accvgpr_write_b32 a5, v19
	v_mov_b32_e32 v19, v17
	v_pk_fma_f32 v[24:25], v[98:99], s[12:13], v[20:21] op_sel:[0,0,1] op_sel_hi:[1,0,0]
	v_pk_fma_f32 v[20:21], v[98:99], s[12:13], v[20:21] op_sel:[0,0,1] op_sel_hi:[1,0,0] neg_lo:[0,0,1] neg_hi:[0,0,1]
	v_pk_add_f32 v[118:119], v[22:23], v[40:41]
	v_pk_add_f32 v[124:125], v[40:41], v[22:23] neg_lo:[0,1] neg_hi:[0,1]
	v_pk_add_f32 v[22:23], v[18:19], v[34:35]
	v_accvgpr_write_b32 a7, v25
	v_mov_b32_e32 v25, v21
	s_mov_b32 s22, 0xbf763a35
	v_pk_add_f32 v[26:27], v[24:25], v[22:23]
	s_mov_b32 s20, 0xbe8c1d8e
	v_pk_mul_f32 v[24:25], v[112:113], s[22:23] op_sel_hi:[1,0]
	s_movk_i32 s7, 0x88
	v_pk_fma_f32 v[28:29], v[106:107], s[20:21], v[24:25] op_sel:[0,0,1] op_sel_hi:[1,0,0]
	v_pk_fma_f32 v[24:25], v[106:107], s[20:21], v[24:25] op_sel:[0,0,1] op_sel_hi:[1,0,0] neg_lo:[0,0,1] neg_hi:[0,0,1]
	v_accvgpr_write_b32 a9, v29
	v_mov_b32_e32 v29, v25
	v_pk_add_f32 v[30:31], v[28:29], v[26:27]
	v_pk_mul_f32 v[28:29], v[124:125], s[26:27] op_sel_hi:[1,0]
	s_nop 0
	v_pk_fma_f32 v[32:33], v[118:119], s[24:25], v[28:29] op_sel:[0,0,1] op_sel_hi:[1,0,0]
	v_pk_fma_f32 v[28:29], v[118:119], s[24:25], v[28:29] op_sel:[0,0,1] op_sel_hi:[1,0,0] neg_lo:[0,0,1] neg_hi:[0,0,1]
	v_accvgpr_write_b32 a11, v33
	v_mov_b32_e32 v33, v29
	v_pk_add_f32 v[34:35], v[32:33], v[30:31]
	v_pk_mul_f32 v[32:33], v[128:129], s[34:35] op_sel_hi:[1,0]
	s_barrier
	v_pk_fma_f32 v[30:31], v[126:127], s[30:31], v[32:33] op_sel:[0,0,1] op_sel_hi:[1,0,0]
	v_pk_fma_f32 v[32:33], v[126:127], s[30:31], v[32:33] op_sel:[0,0,1] op_sel_hi:[1,0,0] neg_lo:[0,0,1] neg_hi:[0,0,1]
	v_mov_b32_e32 v36, v30
	v_mov_b32_e32 v37, v33
	v_pk_add_f32 v[38:39], v[36:37], v[34:35]
	v_pk_mul_f32 v[36:37], v[132:133], s[38:39] op_sel_hi:[1,0]
	v_mad_u32_u24 v30, v2, s7, v1
	v_pk_fma_f32 v[34:35], v[130:131], s[36:37], v[36:37] op_sel:[0,0,1] op_sel_hi:[1,0,0]
	v_pk_fma_f32 v[36:37], v[130:131], s[36:37], v[36:37] op_sel:[0,0,1] op_sel_hi:[1,0,0] neg_lo:[0,0,1] neg_hi:[0,0,1]
	v_mov_b32_e32 v40, v34
	v_mov_b32_e32 v41, v37
	v_pk_add_f32 v[38:39], v[40:41], v[38:39]
	ds_write2_b64 v30, v[42:43], v[38:39] offset1:1
	v_pk_mul_f32 v[38:39], v[74:75], s[28:29] op_sel_hi:[1,0]
	s_mov_b32 s42, 0x3f65296c
	v_pk_fma_f32 v[40:41], v[70:71], s[0:1], v[38:39] op_sel:[0,0,1] op_sel_hi:[1,0,0]
	v_pk_fma_f32 v[38:39], v[70:71], s[0:1], v[38:39] op_sel:[0,0,1] op_sel_hi:[1,0,0] neg_lo:[0,0,1] neg_hi:[0,0,1]
	v_mov_b32_e32 v42, v40
	v_mov_b32_e32 v43, v39
	v_pk_add_f32 v[46:47], v[4:5], v[42:43]
	v_pk_mul_f32 v[42:43], v[84:85], s[40:41] op_sel_hi:[1,0]
	s_mov_b32 s46, 0x3eb8f4ab
	v_pk_fma_f32 v[26:27], v[80:81], s[12:13], v[42:43] op_sel:[0,0,1] op_sel_hi:[1,0,0]
	v_pk_fma_f32 v[42:43], v[80:81], s[12:13], v[42:43] op_sel:[0,0,1] op_sel_hi:[1,0,0] neg_lo:[0,0,1] neg_hi:[0,0,1]
	v_mov_b32_e32 v48, v26
	v_mov_b32_e32 v49, v43
	v_pk_add_f32 v[50:51], v[48:49], v[46:47]
	;; [unrolled: 7-line block ×6, first 2 shown]
	v_pk_mul_f32 v[64:65], v[128:129], s[42:43] op_sel_hi:[1,0]
	v_pk_mul_f32 v[206:207], v[84:85], s[50:51] op_sel_hi:[1,0]
	v_pk_fma_f32 v[62:63], v[126:127], s[6:7], v[64:65] op_sel:[0,0,1] op_sel_hi:[1,0,0]
	v_pk_fma_f32 v[64:65], v[126:127], s[6:7], v[64:65] op_sel:[0,0,1] op_sel_hi:[1,0,0] neg_lo:[0,0,1] neg_hi:[0,0,1]
	v_mov_b32_e32 v68, v62
	v_mov_b32_e32 v69, v65
	v_pk_add_f32 v[72:73], v[68:69], v[66:67]
	v_pk_mul_f32 v[68:69], v[132:133], s[46:47] op_sel_hi:[1,0]
	v_pk_fma_f32 v[208:209], v[80:81], s[20:21], v[206:207] op_sel:[0,0,1] op_sel_hi:[1,0,0]
	v_pk_fma_f32 v[66:67], v[130:131], s[8:9], v[68:69] op_sel:[0,0,1] op_sel_hi:[1,0,0]
	v_pk_fma_f32 v[68:69], v[130:131], s[8:9], v[68:69] op_sel:[0,0,1] op_sel_hi:[1,0,0] neg_lo:[0,0,1] neg_hi:[0,0,1]
	v_mov_b32_e32 v76, v66
	v_mov_b32_e32 v77, v69
	v_pk_add_f32 v[134:135], v[76:77], v[72:73]
	v_pk_mul_f32 v[72:73], v[74:75], s[44:45] op_sel_hi:[1,0]
	v_pk_fma_f32 v[206:207], v[80:81], s[20:21], v[206:207] op_sel:[0,0,1] op_sel_hi:[1,0,0] neg_lo:[0,0,1] neg_hi:[0,0,1]
	v_pk_fma_f32 v[76:77], v[70:71], s[6:7], v[72:73] op_sel:[0,0,1] op_sel_hi:[1,0,0]
	v_pk_fma_f32 v[72:73], v[70:71], s[6:7], v[72:73] op_sel:[0,0,1] op_sel_hi:[1,0,0] neg_lo:[0,0,1] neg_hi:[0,0,1]
	v_mov_b32_e32 v78, v76
	v_mov_b32_e32 v79, v73
	v_pk_add_f32 v[88:89], v[4:5], v[78:79]
	v_pk_mul_f32 v[78:79], v[84:85], s[26:27] op_sel_hi:[1,0]
	v_mov_b32_e32 v210, v208
	v_pk_fma_f32 v[22:23], v[80:81], s[24:25], v[78:79] op_sel:[0,0,1] op_sel_hi:[1,0,0]
	v_pk_fma_f32 v[78:79], v[80:81], s[24:25], v[78:79] op_sel:[0,0,1] op_sel_hi:[1,0,0] neg_lo:[0,0,1] neg_hi:[0,0,1]
	v_mov_b32_e32 v90, v22
	v_mov_b32_e32 v91, v79
	v_pk_add_f32 v[94:95], v[90:91], v[88:89]
	v_pk_mul_f32 v[90:91], v[92:93], s[58:59] op_sel_hi:[1,0]
	v_mov_b32_e32 v211, v207
	v_pk_fma_f32 v[88:89], v[86:87], s[36:37], v[90:91] op_sel:[0,0,1] op_sel_hi:[1,0,0]
	v_pk_fma_f32 v[90:91], v[86:87], s[36:37], v[90:91] op_sel:[0,0,1] op_sel_hi:[1,0,0] neg_lo:[0,0,1] neg_hi:[0,0,1]
	v_mov_b32_e32 v96, v88
	v_mov_b32_e32 v97, v91
	v_pk_add_f32 v[102:103], v[96:97], v[94:95]
	v_pk_mul_f32 v[96:97], v[100:101], s[50:51] op_sel_hi:[1,0]
	v_pk_mul_f32 v[240:241], v[84:85], s[42:43] op_sel_hi:[1,0]
	v_pk_fma_f32 v[94:95], v[98:99], s[20:21], v[96:97] op_sel:[0,0,1] op_sel_hi:[1,0,0]
	v_pk_fma_f32 v[96:97], v[98:99], s[20:21], v[96:97] op_sel:[0,0,1] op_sel_hi:[1,0,0] neg_lo:[0,0,1] neg_hi:[0,0,1]
	v_mov_b32_e32 v104, v94
	v_mov_b32_e32 v105, v97
	v_pk_add_f32 v[108:109], v[104:105], v[102:103]
	v_pk_mul_f32 v[104:105], v[112:113], s[48:49] op_sel_hi:[1,0]
	v_pk_fma_f32 v[242:243], v[80:81], s[6:7], v[240:241] op_sel:[0,0,1] op_sel_hi:[1,0,0]
	v_pk_fma_f32 v[102:103], v[106:107], s[0:1], v[104:105] op_sel:[0,0,1] op_sel_hi:[1,0,0]
	v_pk_fma_f32 v[104:105], v[106:107], s[0:1], v[104:105] op_sel:[0,0,1] op_sel_hi:[1,0,0] neg_lo:[0,0,1] neg_hi:[0,0,1]
	v_mov_b32_e32 v110, v102
	v_mov_b32_e32 v111, v105
	v_pk_add_f32 v[114:115], v[110:111], v[108:109]
	v_pk_mul_f32 v[110:111], v[124:125], s[10:11] op_sel_hi:[1,0]
	v_pk_fma_f32 v[240:241], v[80:81], s[6:7], v[240:241] op_sel:[0,0,1] op_sel_hi:[1,0,0] neg_lo:[0,0,1] neg_hi:[0,0,1]
	v_pk_fma_f32 v[108:109], v[118:119], s[8:9], v[110:111] op_sel:[0,0,1] op_sel_hi:[1,0,0]
	v_pk_fma_f32 v[110:111], v[118:119], s[8:9], v[110:111] op_sel:[0,0,1] op_sel_hi:[1,0,0] neg_lo:[0,0,1] neg_hi:[0,0,1]
	v_mov_b32_e32 v116, v108
	v_mov_b32_e32 v117, v111
	v_pk_add_f32 v[120:121], v[116:117], v[114:115]
	v_pk_mul_f32 v[116:117], v[128:129], s[40:41] op_sel_hi:[1,0]
	v_mov_b32_e32 v244, v242
	v_pk_fma_f32 v[114:115], v[126:127], s[12:13], v[116:117] op_sel:[0,0,1] op_sel_hi:[1,0,0]
	v_pk_fma_f32 v[116:117], v[126:127], s[12:13], v[116:117] op_sel:[0,0,1] op_sel_hi:[1,0,0] neg_lo:[0,0,1] neg_hi:[0,0,1]
	v_mov_b32_e32 v122, v114
	v_mov_b32_e32 v123, v117
	v_pk_add_f32 v[136:137], v[122:123], v[120:121]
	v_pk_mul_f32 v[122:123], v[132:133], s[34:35] op_sel_hi:[1,0]
	v_mov_b32_e32 v245, v241
	v_pk_fma_f32 v[120:121], v[130:131], s[30:31], v[122:123] op_sel:[0,0,1] op_sel_hi:[1,0,0]
	v_pk_fma_f32 v[122:123], v[130:131], s[30:31], v[122:123] op_sel:[0,0,1] op_sel_hi:[1,0,0] neg_lo:[0,0,1] neg_hi:[0,0,1]
	v_mov_b32_e32 v138, v120
	v_mov_b32_e32 v139, v123
	v_pk_add_f32 v[136:137], v[138:139], v[136:137]
	ds_write2_b64 v30, v[134:135], v[136:137] offset0:2 offset1:3
	v_pk_mul_f32 v[134:135], v[74:75], s[40:41] op_sel_hi:[1,0]
	v_mov_b32_e32 v241, v243
	v_pk_fma_f32 v[136:137], v[70:71], s[12:13], v[134:135] op_sel:[0,0,1] op_sel_hi:[1,0,0]
	v_pk_fma_f32 v[134:135], v[70:71], s[12:13], v[134:135] op_sel:[0,0,1] op_sel_hi:[1,0,0] neg_lo:[0,0,1] neg_hi:[0,0,1]
	v_mov_b32_e32 v138, v136
	v_mov_b32_e32 v139, v135
	v_pk_add_f32 v[142:143], v[4:5], v[138:139]
	v_pk_mul_f32 v[138:139], v[84:85], s[38:39] op_sel_hi:[1,0]
	v_mov_b32_e32 v207, v209
	v_pk_fma_f32 v[18:19], v[80:81], s[36:37], v[138:139] op_sel:[0,0,1] op_sel_hi:[1,0,0]
	v_pk_fma_f32 v[138:139], v[80:81], s[36:37], v[138:139] op_sel:[0,0,1] op_sel_hi:[1,0,0] neg_lo:[0,0,1] neg_hi:[0,0,1]
	v_mov_b32_e32 v144, v18
	v_mov_b32_e32 v145, v139
	v_pk_add_f32 v[146:147], v[144:145], v[142:143]
	;; [unrolled: 7-line block ×16, first 2 shown]
	ds_write2_b64 v30, v[200:201], v[202:203] offset0:4 offset1:5
	v_pk_mul_f32 v[200:201], v[74:75], s[26:27] op_sel_hi:[1,0]
	v_mov_b32_e32 v197, v195
	v_pk_fma_f32 v[202:203], v[70:71], s[24:25], v[200:201] op_sel:[0,0,1] op_sel_hi:[1,0,0]
	v_pk_fma_f32 v[200:201], v[70:71], s[24:25], v[200:201] op_sel:[0,0,1] op_sel_hi:[1,0,0] neg_lo:[0,0,1] neg_hi:[0,0,1]
	v_mov_b32_e32 v204, v202
	v_mov_b32_e32 v205, v201
	v_pk_add_f32 v[204:205], v[4:5], v[204:205]
	v_mov_b32_e32 v201, v203
	v_pk_add_f32 v[204:205], v[210:211], v[204:205]
	v_pk_mul_f32 v[210:211], v[92:93], s[10:11] op_sel_hi:[1,0]
	v_mov_b32_e32 v165, v163
	v_pk_fma_f32 v[212:213], v[86:87], s[8:9], v[210:211] op_sel:[0,0,1] op_sel_hi:[1,0,0]
	v_pk_fma_f32 v[210:211], v[86:87], s[8:9], v[210:211] op_sel:[0,0,1] op_sel_hi:[1,0,0] neg_lo:[0,0,1] neg_hi:[0,0,1]
	v_mov_b32_e32 v214, v212
	v_mov_b32_e32 v215, v211
	v_pk_add_f32 v[204:205], v[214:215], v[204:205]
	v_pk_mul_f32 v[214:215], v[100:101], s[34:35] op_sel_hi:[1,0]
	v_mov_b32_e32 v211, v213
	v_pk_fma_f32 v[216:217], v[98:99], s[30:31], v[214:215] op_sel:[0,0,1] op_sel_hi:[1,0,0]
	v_pk_fma_f32 v[214:215], v[98:99], s[30:31], v[214:215] op_sel:[0,0,1] op_sel_hi:[1,0,0] neg_lo:[0,0,1] neg_hi:[0,0,1]
	v_mov_b32_e32 v218, v216
	;; [unrolled: 7-line block ×7, first 2 shown]
	v_mov_b32_e32 v239, v235
	v_pk_add_f32 v[238:239], v[4:5], v[238:239]
	v_mov_b32_e32 v235, v237
	v_pk_add_f32 v[238:239], v[244:245], v[238:239]
	v_pk_mul_f32 v[244:245], v[92:93], s[40:41] op_sel_hi:[1,0]
	v_mov_b32_e32 v73, v77
	v_pk_fma_f32 v[246:247], v[86:87], s[12:13], v[244:245] op_sel:[0,0,1] op_sel_hi:[1,0,0]
	v_pk_fma_f32 v[244:245], v[86:87], s[12:13], v[244:245] op_sel:[0,0,1] op_sel_hi:[1,0,0] neg_lo:[0,0,1] neg_hi:[0,0,1]
	v_mov_b32_e32 v248, v246
	v_mov_b32_e32 v249, v245
	v_pk_add_f32 v[238:239], v[248:249], v[238:239]
	v_pk_mul_f32 v[248:249], v[100:101], s[56:57] op_sel_hi:[1,0]
	v_mov_b32_e32 v245, v247
	v_pk_fma_f32 v[250:251], v[98:99], s[24:25], v[248:249] op_sel:[0,0,1] op_sel_hi:[1,0,0]
	v_pk_fma_f32 v[248:249], v[98:99], s[24:25], v[248:249] op_sel:[0,0,1] op_sel_hi:[1,0,0] neg_lo:[0,0,1] neg_hi:[0,0,1]
	v_mov_b32_e32 v252, v250
	;; [unrolled: 7-line block ×6, first 2 shown]
	v_mov_b32_e32 v9, v7
	v_pk_add_f32 v[0:1], v[8:9], v[0:1]
	ds_write2_b64 v30, v[204:205], v[0:1] offset0:6 offset1:7
	v_pk_mul_f32 v[0:1], v[74:75], s[38:39] op_sel_hi:[1,0]
	v_mov_b32_e32 v7, v11
	v_pk_fma_f32 v[8:9], v[70:71], s[36:37], v[0:1] op_sel:[0,0,1] op_sel_hi:[1,0,0]
	v_pk_fma_f32 v[0:1], v[70:71], s[36:37], v[0:1] op_sel:[0,0,1] op_sel_hi:[1,0,0] neg_lo:[0,0,1] neg_hi:[0,0,1]
	v_pk_mul_f32 v[70:71], v[84:85], s[46:47] op_sel_hi:[1,0]
	v_mov_b32_e32 v39, v41
	v_pk_fma_f32 v[74:75], v[80:81], s[8:9], v[70:71] op_sel:[0,0,1] op_sel_hi:[1,0,0]
	v_pk_fma_f32 v[70:71], v[80:81], s[8:9], v[70:71] op_sel:[0,0,1] op_sel_hi:[1,0,0] neg_lo:[0,0,1] neg_hi:[0,0,1]
	v_mov_b32_e32 v80, v8
	v_mov_b32_e32 v81, v1
	v_pk_add_f32 v[80:81], v[4:5], v[80:81]
	v_mov_b32_e32 v84, v74
	v_mov_b32_e32 v85, v71
	v_pk_add_f32 v[80:81], v[84:85], v[80:81]
	v_pk_mul_f32 v[84:85], v[92:93], s[34:35] op_sel_hi:[1,0]
	v_mov_b32_e32 v1, v9
	v_pk_fma_f32 v[92:93], v[86:87], s[30:31], v[84:85] op_sel:[0,0,1] op_sel_hi:[1,0,0]
	v_pk_fma_f32 v[84:85], v[86:87], s[30:31], v[84:85] op_sel:[0,0,1] op_sel_hi:[1,0,0] neg_lo:[0,0,1] neg_hi:[0,0,1]
	v_mov_b32_e32 v86, v92
	v_mov_b32_e32 v87, v85
	v_pk_add_f32 v[80:81], v[86:87], v[80:81]
	v_pk_mul_f32 v[86:87], v[100:101], s[48:49] op_sel_hi:[1,0]
	v_mov_b32_e32 v71, v75
	v_pk_fma_f32 v[100:101], v[98:99], s[0:1], v[86:87] op_sel:[0,0,1] op_sel_hi:[1,0,0]
	v_pk_fma_f32 v[86:87], v[98:99], s[0:1], v[86:87] op_sel:[0,0,1] op_sel_hi:[1,0,0] neg_lo:[0,0,1] neg_hi:[0,0,1]
	v_mov_b32_e32 v98, v100
	v_mov_b32_e32 v99, v87
	v_pk_add_f32 v[80:81], v[98:99], v[80:81]
	v_pk_mul_f32 v[98:99], v[112:113], s[26:27] op_sel_hi:[1,0]
	v_pk_add_f32 v[0:1], v[4:5], v[0:1]
	v_pk_fma_f32 v[112:113], v[106:107], s[24:25], v[98:99] op_sel:[0,0,1] op_sel_hi:[1,0,0]
	v_pk_fma_f32 v[98:99], v[106:107], s[24:25], v[98:99] op_sel:[0,0,1] op_sel_hi:[1,0,0] neg_lo:[0,0,1] neg_hi:[0,0,1]
	v_mov_b32_e32 v106, v112
	v_mov_b32_e32 v107, v99
	v_pk_add_f32 v[80:81], v[106:107], v[80:81]
	v_pk_mul_f32 v[106:107], v[124:125], s[42:43] op_sel_hi:[1,0]
	v_pk_add_f32 v[0:1], v[70:71], v[0:1]
	v_pk_fma_f32 v[124:125], v[118:119], s[6:7], v[106:107] op_sel:[0,0,1] op_sel_hi:[1,0,0]
	v_pk_fma_f32 v[106:107], v[118:119], s[6:7], v[106:107] op_sel:[0,0,1] op_sel_hi:[1,0,0] neg_lo:[0,0,1] neg_hi:[0,0,1]
	v_mov_b32_e32 v118, v124
	v_mov_b32_e32 v119, v107
	v_pk_add_f32 v[80:81], v[118:119], v[80:81]
	v_pk_mul_f32 v[118:119], v[128:129], s[22:23] op_sel_hi:[1,0]
	v_mov_b32_e32 v85, v93
	v_pk_fma_f32 v[128:129], v[126:127], s[20:21], v[118:119] op_sel:[0,0,1] op_sel_hi:[1,0,0]
	v_pk_fma_f32 v[118:119], v[126:127], s[20:21], v[118:119] op_sel:[0,0,1] op_sel_hi:[1,0,0] neg_lo:[0,0,1] neg_hi:[0,0,1]
	v_pk_add_f32 v[0:1], v[84:85], v[0:1]
	v_mov_b32_e32 v87, v101
	v_mov_b32_e32 v126, v128
	;; [unrolled: 1-line block ×3, first 2 shown]
	v_pk_add_f32 v[0:1], v[86:87], v[0:1]
	v_mov_b32_e32 v99, v113
	v_pk_add_f32 v[80:81], v[126:127], v[80:81]
	v_pk_mul_f32 v[126:127], v[132:133], s[52:53] op_sel_hi:[1,0]
	v_pk_add_f32 v[0:1], v[98:99], v[0:1]
	v_mov_b32_e32 v107, v125
	v_pk_fma_f32 v[132:133], v[130:131], s[12:13], v[126:127] op_sel:[0,0,1] op_sel_hi:[1,0,0]
	v_pk_fma_f32 v[126:127], v[130:131], s[12:13], v[126:127] op_sel:[0,0,1] op_sel_hi:[1,0,0] neg_lo:[0,0,1] neg_hi:[0,0,1]
	v_pk_add_f32 v[0:1], v[106:107], v[0:1]
	v_mov_b32_e32 v119, v129
	v_mov_b32_e32 v130, v132
	;; [unrolled: 1-line block ×3, first 2 shown]
	v_pk_add_f32 v[0:1], v[118:119], v[0:1]
	v_mov_b32_e32 v127, v133
	v_pk_add_f32 v[80:81], v[130:131], v[80:81]
	v_pk_add_f32 v[0:1], v[126:127], v[0:1]
	ds_write2_b64 v30, v[80:81], v[0:1] offset0:8 offset1:9
	v_pk_add_f32 v[0:1], v[4:5], v[234:235]
	v_mov_b32_e32 v79, v23
	v_pk_add_f32 v[0:1], v[240:241], v[0:1]
	v_mov_b32_e32 v43, v27
	;; [unrolled: 2-line block ×7, first 2 shown]
	v_pk_add_f32 v[0:1], v[6:7], v[0:1]
	v_pk_add_f32 v[6:7], v[4:5], v[200:201]
	v_mov_b32_e32 v57, v55
	v_pk_add_f32 v[6:7], v[206:207], v[6:7]
	v_mov_b32_e32 v111, v109
	;; [unrolled: 2-line block ×7, first 2 shown]
	v_pk_add_f32 v[6:7], v[230:231], v[6:7]
	ds_write2_b64 v30, v[0:1], v[6:7] offset0:10 offset1:11
	v_pk_add_f32 v[0:1], v[4:5], v[166:167]
	v_pk_add_f32 v[6:7], v[4:5], v[134:135]
	v_pk_add_f32 v[0:1], v[170:171], v[0:1]
	v_pk_add_f32 v[6:7], v[138:139], v[6:7]
	v_pk_add_f32 v[0:1], v[176:177], v[0:1]
	v_pk_add_f32 v[6:7], v[144:145], v[6:7]
	v_pk_add_f32 v[0:1], v[180:181], v[0:1]
	v_pk_add_f32 v[6:7], v[148:149], v[6:7]
	v_pk_add_f32 v[0:1], v[184:185], v[0:1]
	v_pk_add_f32 v[6:7], v[152:153], v[6:7]
	v_pk_add_f32 v[0:1], v[188:189], v[0:1]
	v_pk_add_f32 v[6:7], v[156:157], v[6:7]
	v_pk_add_f32 v[0:1], v[192:193], v[0:1]
	v_pk_add_f32 v[6:7], v[160:161], v[6:7]
	v_pk_add_f32 v[0:1], v[196:197], v[0:1]
	v_pk_add_f32 v[6:7], v[164:165], v[6:7]
	ds_write2_b64 v30, v[0:1], v[6:7] offset0:12 offset1:13
	v_pk_add_f32 v[0:1], v[4:5], v[72:73]
	v_pk_add_f32 v[6:7], v[4:5], v[38:39]
	;; [unrolled: 1-line block ×16, first 2 shown]
	v_accvgpr_read_b32 v141, a1
	ds_write2_b64 v30, v[0:1], v[6:7] offset0:14 offset1:15
	v_pk_add_f32 v[0:1], v[4:5], v[140:141]
	v_accvgpr_read_b32 v45, a3
	v_pk_add_f32 v[0:1], v[44:45], v[0:1]
	v_accvgpr_read_b32 v17, a5
	v_pk_add_f32 v[0:1], v[16:17], v[0:1]
	v_accvgpr_read_b32 v21, a7
	v_pk_add_f32 v[0:1], v[20:21], v[0:1]
	v_accvgpr_read_b32 v25, a9
	v_pk_add_f32 v[0:1], v[24:25], v[0:1]
	v_accvgpr_read_b32 v29, a11
	v_pk_add_f32 v[0:1], v[28:29], v[0:1]
	v_mov_b32_e32 v33, v31
	v_pk_add_f32 v[0:1], v[32:33], v[0:1]
	v_mov_b32_e32 v37, v35
	v_pk_add_f32 v[0:1], v[36:37], v[0:1]
	ds_write_b64 v30, v[0:1] offset:128
	v_lshlrev_b32_e32 v0, 7, v2
	s_waitcnt lgkmcnt(0)
	s_barrier
	global_load_dwordx4 v[6:9], v0, s[4:5]
	global_load_dwordx4 v[10:13], v0, s[4:5] offset:48
	global_load_dwordx4 v[14:17], v0, s[4:5] offset:64
	;; [unrolled: 1-line block ×7, first 2 shown]
	ds_read2_b64 v[38:41], v83 offset0:17 offset1:34
	v_accvgpr_read_b32 v0, a0
	ds_read_b64 v[4:5], v0
	ds_read2_b64 v[42:45], v83 offset0:136 offset1:153
	s_mul_i32 s2, s2, s23
	v_cmp_gt_u32_e32 vcc, 7, v82
	s_waitcnt vmcnt(7) lgkmcnt(2)
	v_mul_f32_e32 v2, v9, v40
	v_mul_f32_e32 v0, v7, v39
	;; [unrolled: 1-line block ×4, first 2 shown]
	v_fma_f32 v51, v8, v41, -v2
	s_waitcnt vmcnt(6)
	v_mov_b32_e32 v2, v13
	v_fmac_f32_e32 v0, v6, v38
	v_fma_f32 v1, v6, v39, -v1
	v_fmac_f32_e32 v50, v8, v40
	ds_read2_b64 v[6:9], v83 offset0:170 offset1:187
	ds_read2_b64 v[38:41], v83 offset0:204 offset1:221
	;; [unrolled: 1-line block ×3, first 2 shown]
	s_waitcnt lgkmcnt(3)
	v_pk_mul_f32 v[52:53], v[42:43], v[2:3] op_sel_hi:[1,0]
	s_waitcnt vmcnt(5)
	v_mov_b32_e32 v2, v17
	v_pk_fma_f32 v[54:55], v[42:43], v[12:13], v[52:53] op_sel:[0,0,1] op_sel_hi:[1,1,0]
	v_pk_fma_f32 v[12:13], v[42:43], v[12:13], v[52:53] op_sel:[0,0,1] op_sel_hi:[1,0,0] neg_lo:[0,0,1] neg_hi:[0,0,1]
	s_nop 0
	v_mov_b32_e32 v55, v13
	v_pk_mul_f32 v[12:13], v[44:45], v[14:15] op_sel:[0,1]
	s_nop 0
	v_pk_fma_f32 v[42:43], v[44:45], v[14:15], v[12:13] op_sel:[0,0,1] op_sel_hi:[1,1,0]
	v_pk_fma_f32 v[12:13], v[44:45], v[14:15], v[12:13] op_sel:[0,0,1] op_sel_hi:[1,0,0] neg_lo:[0,0,1] neg_hi:[0,0,1]
	s_waitcnt lgkmcnt(2)
	v_pk_mul_f32 v[14:15], v[6:7], v[2:3] op_sel_hi:[1,0]
	s_waitcnt vmcnt(4)
	v_mov_b32_e32 v2, v21
	v_pk_fma_f32 v[44:45], v[6:7], v[16:17], v[14:15] op_sel:[0,0,1] op_sel_hi:[1,1,0]
	v_pk_fma_f32 v[6:7], v[6:7], v[16:17], v[14:15] op_sel:[0,0,1] op_sel_hi:[1,0,0] neg_lo:[0,0,1] neg_hi:[0,0,1]
	ds_read2_b32 v[16:17], v83 offset0:102 offset1:103
	ds_read_b64 v[14:15], v83 offset:2176
	v_mov_b32_e32 v45, v7
	v_pk_mul_f32 v[6:7], v[8:9], v[18:19] op_sel:[0,1]
	v_mov_b32_e32 v43, v13
	v_pk_fma_f32 v[52:53], v[8:9], v[18:19], v[6:7] op_sel:[0,0,1] op_sel_hi:[1,1,0]
	v_pk_fma_f32 v[6:7], v[8:9], v[18:19], v[6:7] op_sel:[0,0,1] op_sel_hi:[1,0,0] neg_lo:[0,0,1] neg_hi:[0,0,1]
	v_pk_add_f32 v[134:135], v[54:55], v[42:43] neg_lo:[0,1] neg_hi:[0,1]
	v_mov_b32_e32 v53, v7
	s_waitcnt lgkmcnt(3)
	v_pk_mul_f32 v[6:7], v[38:39], v[2:3] op_sel_hi:[1,0]
	s_waitcnt vmcnt(3)
	v_mov_b32_e32 v2, v25
	v_pk_fma_f32 v[56:57], v[38:39], v[20:21], v[6:7] op_sel:[0,0,1] op_sel_hi:[1,1,0]
	v_pk_fma_f32 v[6:7], v[38:39], v[20:21], v[6:7] op_sel:[0,0,1] op_sel_hi:[1,0,0] neg_lo:[0,0,1] neg_hi:[0,0,1]
	v_pk_add_f32 v[128:129], v[54:55], v[42:43]
	v_mov_b32_e32 v57, v7
	v_pk_mul_f32 v[6:7], v[40:41], v[22:23] op_sel:[0,1]
	v_pk_mul_f32 v[68:69], v[134:135], s[46:47] op_sel_hi:[1,0]
	v_pk_fma_f32 v[18:19], v[40:41], v[22:23], v[6:7] op_sel:[0,0,1] op_sel_hi:[1,1,0]
	v_pk_fma_f32 v[6:7], v[40:41], v[22:23], v[6:7] op_sel:[0,0,1] op_sel_hi:[1,0,0] neg_lo:[0,0,1] neg_hi:[0,0,1]
	s_nop 0
	v_mov_b32_e32 v19, v7
	s_waitcnt lgkmcnt(2)
	v_pk_mul_f32 v[6:7], v[46:47], v[2:3] op_sel_hi:[1,0]
	s_waitcnt vmcnt(2)
	v_mov_b32_e32 v2, v29
	v_pk_fma_f32 v[20:21], v[46:47], v[24:25], v[6:7] op_sel:[0,0,1] op_sel_hi:[1,1,0]
	v_pk_fma_f32 v[6:7], v[46:47], v[24:25], v[6:7] op_sel:[0,0,1] op_sel_hi:[1,0,0] neg_lo:[0,0,1] neg_hi:[0,0,1]
	s_nop 0
	v_mov_b32_e32 v21, v7
	v_pk_mul_f32 v[6:7], v[48:49], v[26:27] op_sel:[0,1]
	s_nop 0
	v_pk_fma_f32 v[22:23], v[48:49], v[26:27], v[6:7] op_sel:[0,0,1] op_sel_hi:[1,1,0]
	v_pk_fma_f32 v[6:7], v[48:49], v[26:27], v[6:7] op_sel:[0,0,1] op_sel_hi:[1,0,0] neg_lo:[0,0,1] neg_hi:[0,0,1]
	s_nop 0
	v_mov_b32_e32 v23, v7
	s_waitcnt lgkmcnt(0)
	v_pk_mul_f32 v[6:7], v[14:15], v[2:3] op_sel_hi:[1,0]
	v_mov_b32_e32 v2, v17
	v_pk_fma_f32 v[24:25], v[14:15], v[28:29], v[6:7] op_sel:[0,0,1] op_sel_hi:[1,1,0]
	v_pk_fma_f32 v[6:7], v[14:15], v[28:29], v[6:7] op_sel:[0,0,1] op_sel_hi:[1,0,0] neg_lo:[0,0,1] neg_hi:[0,0,1]
	s_waitcnt vmcnt(1)
	v_pk_mul_f32 v[16:17], v[30:31], v[16:17] op_sel_hi:[1,0]
	v_mov_b32_e32 v25, v7
	ds_read2_b64 v[6:9], v83 offset0:68 offset1:85
	ds_read2_b64 v[12:15], v83 offset0:102 offset1:119
	v_pk_fma_f32 v[26:27], v[2:3], v[30:31], v[16:17] op_sel:[0,1,0] op_sel_hi:[0,0,1]
	v_pk_fma_f32 v[16:17], v[2:3], v[30:31], v[16:17] op_sel:[0,1,0] op_sel_hi:[0,0,1] neg_lo:[0,0,1] neg_hi:[0,0,1]
	v_mov_b32_e32 v2, v33
	s_waitcnt lgkmcnt(1)
	v_pk_mul_f32 v[28:29], v[6:7], v[2:3] op_sel_hi:[1,0]
	s_waitcnt vmcnt(0)
	v_mov_b32_e32 v2, v37
	v_pk_fma_f32 v[30:31], v[6:7], v[32:33], v[28:29] op_sel:[0,0,1] op_sel_hi:[1,0,0]
	v_pk_fma_f32 v[6:7], v[6:7], v[32:33], v[28:29] op_sel:[0,0,1] op_sel_hi:[1,0,0] neg_lo:[0,0,1] neg_hi:[0,0,1]
	v_pk_mul_f32 v[28:29], v[8:9], v[34:35] op_sel:[0,1]
	v_add_f32_e32 v6, v1, v5
	v_pk_fma_f32 v[32:33], v[8:9], v[34:35], v[28:29] op_sel:[0,0,1] op_sel_hi:[1,0,0]
	v_pk_fma_f32 v[8:9], v[8:9], v[34:35], v[28:29] op_sel:[0,0,1] op_sel_hi:[1,0,0] neg_lo:[0,0,1] neg_hi:[0,0,1]
	s_waitcnt lgkmcnt(0)
	v_pk_mul_f32 v[28:29], v[12:13], v[2:3] op_sel_hi:[1,0]
	v_add_f32_e32 v2, v0, v4
	v_add_f32_e32 v2, v2, v50
	;; [unrolled: 1-line block ×3, first 2 shown]
	v_pk_fma_f32 v[34:35], v[12:13], v[36:37], v[28:29] op_sel:[0,0,1] op_sel_hi:[1,1,0]
	v_pk_fma_f32 v[12:13], v[12:13], v[36:37], v[28:29] op_sel:[0,0,1] op_sel_hi:[1,0,0] neg_lo:[0,0,1] neg_hi:[0,0,1]
	v_add_f32_e32 v2, v2, v26
	v_add_f32_e32 v6, v6, v17
	v_mov_b32_e32 v31, v7
	v_mov_b32_e32 v35, v13
	v_pk_mul_f32 v[12:13], v[14:15], v[10:11] op_sel:[0,1]
	v_add_f32_e32 v2, v2, v30
	v_add_f32_e32 v7, v6, v7
	v_pk_fma_f32 v[36:37], v[14:15], v[10:11], v[12:13] op_sel:[0,0,1] op_sel_hi:[1,1,0]
	v_pk_fma_f32 v[10:11], v[14:15], v[10:11], v[12:13] op_sel:[0,0,1] op_sel_hi:[1,0,0] neg_lo:[0,0,1] neg_hi:[0,0,1]
	v_add_f32_e32 v6, v2, v32
	v_add_f32_e32 v7, v7, v9
	v_mov_b32_e32 v37, v11
	v_pk_add_f32 v[6:7], v[6:7], v[34:35]
	v_pk_add_f32 v[104:105], v[0:1], v[24:25] neg_lo:[0,1] neg_hi:[0,1]
	v_pk_add_f32 v[6:7], v[6:7], v[36:37]
	v_mov_b32_e32 v27, v17
	v_pk_add_f32 v[6:7], v[6:7], v[54:55]
	v_pk_add_f32 v[102:103], v[0:1], v[24:25]
	;; [unrolled: 1-line block ×3, first 2 shown]
	v_pk_mul_f32 v[0:1], v[104:105], s[10:11] op_sel_hi:[1,0]
	v_pk_add_f32 v[6:7], v[6:7], v[44:45]
	v_pk_add_f32 v[114:115], v[50:51], v[22:23] neg_lo:[0,1] neg_hi:[0,1]
	v_pk_add_f32 v[6:7], v[6:7], v[52:53]
	v_pk_fma_f32 v[72:73], v[102:103], s[8:9], v[0:1] op_sel:[0,0,1] op_sel_hi:[1,0,0] neg_lo:[0,0,1] neg_hi:[0,0,1]
	v_pk_add_f32 v[6:7], v[6:7], v[56:57]
	v_pk_add_f32 v[108:109], v[50:51], v[22:23]
	v_pk_add_f32 v[6:7], v[6:7], v[18:19]
	v_pk_mul_f32 v[12:13], v[114:115], s[28:29] op_sel_hi:[1,0]
	v_pk_add_f32 v[6:7], v[6:7], v[20:21]
	v_pk_add_f32 v[112:113], v[26:27], v[20:21] neg_lo:[0,1] neg_hi:[0,1]
	v_pk_add_f32 v[6:7], v[6:7], v[22:23]
	v_pk_fma_f32 v[14:15], v[108:109], s[0:1], v[12:13] op_sel:[0,0,1] op_sel_hi:[1,0,0]
	v_pk_add_f32 v[38:39], v[6:7], v[24:25]
	v_pk_fma_f32 v[6:7], v[102:103], s[8:9], v[0:1] op_sel:[0,0,1] op_sel_hi:[1,0,0]
	v_mov_b32_e32 v1, v73
	v_mov_b32_e32 v0, v6
	v_pk_fma_f32 v[48:49], v[108:109], s[0:1], v[12:13] op_sel:[0,0,1] op_sel_hi:[1,0,0] neg_lo:[0,0,1] neg_hi:[0,0,1]
	v_pk_add_f32 v[106:107], v[26:27], v[20:21]
	v_pk_mul_f32 v[16:17], v[112:113], s[44:45] op_sel_hi:[1,0]
	v_pk_add_f32 v[0:1], v[0:1], v[4:5]
	v_accvgpr_write_b32 a3, v15
	v_mov_b32_e32 v15, v49
	v_pk_fma_f32 v[20:21], v[106:107], s[6:7], v[16:17] op_sel:[0,0,1] op_sel_hi:[1,0,0]
	v_pk_fma_f32 v[16:17], v[106:107], s[6:7], v[16:17] op_sel:[0,0,1] op_sel_hi:[1,0,0] neg_lo:[0,0,1] neg_hi:[0,0,1]
	v_mov_b32_e32 v33, v9
	v_pk_add_f32 v[0:1], v[14:15], v[0:1]
	v_accvgpr_write_b32 a5, v21
	v_mov_b32_e32 v21, v17
	v_pk_add_f32 v[118:119], v[30:31], v[18:19] neg_lo:[0,1] neg_hi:[0,1]
	v_pk_add_f32 v[0:1], v[20:21], v[0:1]
	v_pk_add_f32 v[110:111], v[30:31], v[18:19]
	v_pk_mul_f32 v[20:21], v[118:119], s[40:41] op_sel_hi:[1,0]
	v_pk_add_f32 v[122:123], v[32:33], v[56:57] neg_lo:[0,1] neg_hi:[0,1]
	v_pk_fma_f32 v[22:23], v[110:111], s[12:13], v[20:21] op_sel:[0,0,1] op_sel_hi:[1,0,0]
	v_pk_fma_f32 v[20:21], v[110:111], s[12:13], v[20:21] op_sel:[0,0,1] op_sel_hi:[1,0,0] neg_lo:[0,0,1] neg_hi:[0,0,1]
	v_pk_add_f32 v[116:117], v[32:33], v[56:57]
	v_pk_mul_f32 v[24:25], v[122:123], s[22:23] op_sel_hi:[1,0]
	v_pk_add_f32 v[126:127], v[34:35], v[52:53] neg_lo:[0,1] neg_hi:[0,1]
	v_accvgpr_write_b32 a7, v23
	v_mov_b32_e32 v23, v21
	v_pk_fma_f32 v[26:27], v[116:117], s[20:21], v[24:25] op_sel:[0,0,1] op_sel_hi:[1,0,0]
	v_pk_fma_f32 v[24:25], v[116:117], s[20:21], v[24:25] op_sel:[0,0,1] op_sel_hi:[1,0,0] neg_lo:[0,0,1] neg_hi:[0,0,1]
	v_pk_add_f32 v[120:121], v[34:35], v[52:53]
	v_pk_mul_f32 v[28:29], v[126:127], s[26:27] op_sel_hi:[1,0]
	v_pk_add_f32 v[0:1], v[22:23], v[0:1]
	v_accvgpr_write_b32 a9, v27
	v_mov_b32_e32 v27, v25
	v_pk_fma_f32 v[30:31], v[120:121], s[24:25], v[28:29] op_sel:[0,0,1] op_sel_hi:[1,0,0]
	v_pk_fma_f32 v[28:29], v[120:121], s[24:25], v[28:29] op_sel:[0,0,1] op_sel_hi:[1,0,0] neg_lo:[0,0,1] neg_hi:[0,0,1]
	v_pk_add_f32 v[132:133], v[36:37], v[44:45] neg_lo:[0,1] neg_hi:[0,1]
	v_pk_add_f32 v[0:1], v[26:27], v[0:1]
	v_accvgpr_write_b32 a11, v31
	v_mov_b32_e32 v31, v29
	v_pk_add_f32 v[124:125], v[36:37], v[44:45]
	v_pk_mul_f32 v[32:33], v[132:133], s[34:35] op_sel_hi:[1,0]
	v_pk_add_f32 v[0:1], v[30:31], v[0:1]
	v_pk_fma_f32 v[30:31], v[124:125], s[30:31], v[32:33] op_sel:[0,0,1] op_sel_hi:[1,0,0]
	v_pk_fma_f32 v[32:33], v[124:125], s[30:31], v[32:33] op_sel:[0,0,1] op_sel_hi:[1,0,0] neg_lo:[0,0,1] neg_hi:[0,0,1]
	v_mov_b32_e32 v34, v30
	v_mov_b32_e32 v35, v33
	v_pk_mul_f32 v[36:37], v[134:135], s[38:39] op_sel_hi:[1,0]
	v_pk_add_f32 v[0:1], v[34:35], v[0:1]
	v_pk_fma_f32 v[34:35], v[128:129], s[36:37], v[36:37] op_sel:[0,0,1] op_sel_hi:[1,0,0]
	v_pk_fma_f32 v[36:37], v[128:129], s[36:37], v[36:37] op_sel:[0,0,1] op_sel_hi:[1,0,0] neg_lo:[0,0,1] neg_hi:[0,0,1]
	v_mov_b32_e32 v40, v34
	v_mov_b32_e32 v41, v37
	v_pk_add_f32 v[0:1], v[40:41], v[0:1]
	s_barrier
	ds_write2_b64 v83, v[38:39], v[0:1] offset1:17
	v_pk_mul_f32 v[0:1], v[104:105], s[28:29] op_sel_hi:[1,0]
	v_pk_mul_f32 v[42:43], v[114:115], s[40:41] op_sel_hi:[1,0]
	v_pk_fma_f32 v[40:41], v[102:103], s[0:1], v[0:1] op_sel:[0,0,1] op_sel_hi:[1,0,0]
	v_pk_fma_f32 v[38:39], v[102:103], s[0:1], v[0:1] op_sel:[0,0,1] op_sel_hi:[1,0,0] neg_lo:[0,0,1] neg_hi:[0,0,1]
	v_mov_b32_e32 v0, v40
	v_mov_b32_e32 v1, v39
	v_pk_fma_f32 v[44:45], v[108:109], s[12:13], v[42:43] op_sel:[0,0,1] op_sel_hi:[1,0,0]
	v_pk_fma_f32 v[42:43], v[108:109], s[12:13], v[42:43] op_sel:[0,0,1] op_sel_hi:[1,0,0] neg_lo:[0,0,1] neg_hi:[0,0,1]
	v_pk_add_f32 v[0:1], v[0:1], v[4:5]
	v_mov_b32_e32 v46, v44
	v_mov_b32_e32 v47, v43
	v_pk_add_f32 v[0:1], v[46:47], v[0:1]
	v_pk_mul_f32 v[46:47], v[112:113], s[26:27] op_sel_hi:[1,0]
	v_pk_mul_f32 v[54:55], v[122:123], s[54:55] op_sel_hi:[1,0]
	v_pk_fma_f32 v[26:27], v[106:107], s[24:25], v[46:47] op_sel:[0,0,1] op_sel_hi:[1,0,0]
	v_pk_fma_f32 v[50:51], v[106:107], s[24:25], v[46:47] op_sel:[0,0,1] op_sel_hi:[1,0,0] neg_lo:[0,0,1] neg_hi:[0,0,1]
	v_mov_b32_e32 v46, v26
	v_mov_b32_e32 v47, v51
	v_pk_add_f32 v[0:1], v[46:47], v[0:1]
	v_pk_mul_f32 v[46:47], v[118:119], s[38:39] op_sel_hi:[1,0]
	v_pk_mul_f32 v[60:61], v[126:127], s[50:51] op_sel_hi:[1,0]
	v_pk_fma_f32 v[56:57], v[110:111], s[36:37], v[46:47] op_sel:[0,0,1] op_sel_hi:[1,0,0]
	v_pk_fma_f32 v[46:47], v[110:111], s[36:37], v[46:47] op_sel:[0,0,1] op_sel_hi:[1,0,0] neg_lo:[0,0,1] neg_hi:[0,0,1]
	v_mov_b32_e32 v52, v56
	v_mov_b32_e32 v53, v47
	v_pk_add_f32 v[0:1], v[52:53], v[0:1]
	v_pk_fma_f32 v[52:53], v[116:117], s[30:31], v[54:55] op_sel:[0,0,1] op_sel_hi:[1,0,0]
	v_pk_fma_f32 v[54:55], v[116:117], s[30:31], v[54:55] op_sel:[0,0,1] op_sel_hi:[1,0,0] neg_lo:[0,0,1] neg_hi:[0,0,1]
	v_mov_b32_e32 v58, v52
	v_mov_b32_e32 v59, v55
	v_pk_add_f32 v[0:1], v[58:59], v[0:1]
	v_pk_fma_f32 v[58:59], v[120:121], s[20:21], v[60:61] op_sel:[0,0,1] op_sel_hi:[1,0,0]
	v_pk_fma_f32 v[60:61], v[120:121], s[20:21], v[60:61] op_sel:[0,0,1] op_sel_hi:[1,0,0] neg_lo:[0,0,1] neg_hi:[0,0,1]
	v_mov_b32_e32 v62, v58
	v_mov_b32_e32 v63, v61
	v_pk_mul_f32 v[64:65], v[132:133], s[42:43] op_sel_hi:[1,0]
	v_pk_add_f32 v[0:1], v[62:63], v[0:1]
	v_pk_fma_f32 v[62:63], v[124:125], s[6:7], v[64:65] op_sel:[0,0,1] op_sel_hi:[1,0,0]
	v_pk_fma_f32 v[64:65], v[124:125], s[6:7], v[64:65] op_sel:[0,0,1] op_sel_hi:[1,0,0] neg_lo:[0,0,1] neg_hi:[0,0,1]
	v_mov_b32_e32 v66, v62
	v_mov_b32_e32 v67, v65
	v_pk_add_f32 v[0:1], v[66:67], v[0:1]
	v_pk_fma_f32 v[66:67], v[128:129], s[8:9], v[68:69] op_sel:[0,0,1] op_sel_hi:[1,0,0]
	v_pk_fma_f32 v[68:69], v[128:129], s[8:9], v[68:69] op_sel:[0,0,1] op_sel_hi:[1,0,0] neg_lo:[0,0,1] neg_hi:[0,0,1]
	v_mov_b32_e32 v70, v66
	v_mov_b32_e32 v71, v69
	v_pk_add_f32 v[130:131], v[70:71], v[0:1]
	v_pk_mul_f32 v[0:1], v[104:105], s[44:45] op_sel_hi:[1,0]
	v_pk_mul_f32 v[74:75], v[114:115], s[26:27] op_sel_hi:[1,0]
	v_pk_fma_f32 v[22:23], v[102:103], s[6:7], v[0:1] op_sel:[0,0,1] op_sel_hi:[1,0,0]
	v_pk_fma_f32 v[70:71], v[102:103], s[6:7], v[0:1] op_sel:[0,0,1] op_sel_hi:[1,0,0] neg_lo:[0,0,1] neg_hi:[0,0,1]
	v_mov_b32_e32 v0, v22
	v_mov_b32_e32 v1, v71
	v_pk_fma_f32 v[76:77], v[108:109], s[24:25], v[74:75] op_sel:[0,0,1] op_sel_hi:[1,0,0]
	v_pk_fma_f32 v[74:75], v[108:109], s[24:25], v[74:75] op_sel:[0,0,1] op_sel_hi:[1,0,0] neg_lo:[0,0,1] neg_hi:[0,0,1]
	v_pk_add_f32 v[0:1], v[0:1], v[4:5]
	v_mov_b32_e32 v78, v76
	v_mov_b32_e32 v79, v75
	v_pk_mul_f32 v[80:81], v[112:113], s[58:59] op_sel_hi:[1,0]
	v_pk_add_f32 v[0:1], v[78:79], v[0:1]
	v_pk_fma_f32 v[78:79], v[106:107], s[36:37], v[80:81] op_sel:[0,0,1] op_sel_hi:[1,0,0]
	v_pk_fma_f32 v[80:81], v[106:107], s[36:37], v[80:81] op_sel:[0,0,1] op_sel_hi:[1,0,0] neg_lo:[0,0,1] neg_hi:[0,0,1]
	v_mov_b32_e32 v84, v78
	v_mov_b32_e32 v85, v81
	v_pk_add_f32 v[86:87], v[84:85], v[0:1]
	v_pk_mul_f32 v[84:85], v[118:119], s[50:51] op_sel_hi:[1,0]
	v_pk_mul_f32 v[204:205], v[114:115], s[50:51] op_sel_hi:[1,0]
	v_pk_fma_f32 v[18:19], v[110:111], s[20:21], v[84:85] op_sel:[0,0,1] op_sel_hi:[1,0,0]
	v_pk_fma_f32 v[84:85], v[110:111], s[20:21], v[84:85] op_sel:[0,0,1] op_sel_hi:[1,0,0] neg_lo:[0,0,1] neg_hi:[0,0,1]
	v_mov_b32_e32 v88, v18
	v_mov_b32_e32 v89, v85
	v_pk_add_f32 v[90:91], v[88:89], v[86:87]
	v_pk_mul_f32 v[88:89], v[122:123], s[48:49] op_sel_hi:[1,0]
	v_pk_fma_f32 v[206:207], v[108:109], s[20:21], v[204:205] op_sel:[0,0,1] op_sel_hi:[1,0,0]
	v_pk_fma_f32 v[86:87], v[116:117], s[0:1], v[88:89] op_sel:[0,0,1] op_sel_hi:[1,0,0]
	v_pk_fma_f32 v[88:89], v[116:117], s[0:1], v[88:89] op_sel:[0,0,1] op_sel_hi:[1,0,0] neg_lo:[0,0,1] neg_hi:[0,0,1]
	v_mov_b32_e32 v92, v86
	v_mov_b32_e32 v93, v89
	v_pk_add_f32 v[94:95], v[92:93], v[90:91]
	v_pk_mul_f32 v[92:93], v[126:127], s[10:11] op_sel_hi:[1,0]
	v_pk_fma_f32 v[204:205], v[108:109], s[20:21], v[204:205] op_sel:[0,0,1] op_sel_hi:[1,0,0] neg_lo:[0,0,1] neg_hi:[0,0,1]
	v_pk_fma_f32 v[90:91], v[120:121], s[8:9], v[92:93] op_sel:[0,0,1] op_sel_hi:[1,0,0]
	v_pk_fma_f32 v[92:93], v[120:121], s[8:9], v[92:93] op_sel:[0,0,1] op_sel_hi:[1,0,0] neg_lo:[0,0,1] neg_hi:[0,0,1]
	v_mov_b32_e32 v96, v90
	v_mov_b32_e32 v97, v93
	v_pk_add_f32 v[98:99], v[96:97], v[94:95]
	v_pk_mul_f32 v[96:97], v[132:133], s[40:41] op_sel_hi:[1,0]
	v_mov_b32_e32 v208, v206
	v_pk_fma_f32 v[94:95], v[124:125], s[12:13], v[96:97] op_sel:[0,0,1] op_sel_hi:[1,0,0]
	v_pk_fma_f32 v[96:97], v[124:125], s[12:13], v[96:97] op_sel:[0,0,1] op_sel_hi:[1,0,0] neg_lo:[0,0,1] neg_hi:[0,0,1]
	v_mov_b32_e32 v100, v94
	v_mov_b32_e32 v101, v97
	v_pk_add_f32 v[136:137], v[100:101], v[98:99]
	v_pk_mul_f32 v[100:101], v[134:135], s[34:35] op_sel_hi:[1,0]
	v_mov_b32_e32 v209, v205
	v_pk_fma_f32 v[98:99], v[128:129], s[30:31], v[100:101] op_sel:[0,0,1] op_sel_hi:[1,0,0]
	v_pk_fma_f32 v[100:101], v[128:129], s[30:31], v[100:101] op_sel:[0,0,1] op_sel_hi:[1,0,0] neg_lo:[0,0,1] neg_hi:[0,0,1]
	v_mov_b32_e32 v138, v98
	v_mov_b32_e32 v139, v101
	v_pk_add_f32 v[136:137], v[138:139], v[136:137]
	ds_write2_b64 v83, v[130:131], v[136:137] offset0:34 offset1:51
	v_pk_mul_f32 v[130:131], v[104:105], s[40:41] op_sel_hi:[1,0]
	v_pk_mul_f32 v[238:239], v[114:115], s[42:43] op_sel_hi:[1,0]
	v_pk_fma_f32 v[136:137], v[102:103], s[12:13], v[130:131] op_sel:[0,0,1] op_sel_hi:[1,0,0]
	v_pk_fma_f32 v[130:131], v[102:103], s[12:13], v[130:131] op_sel:[0,0,1] op_sel_hi:[1,0,0] neg_lo:[0,0,1] neg_hi:[0,0,1]
	v_mov_b32_e32 v138, v136
	v_mov_b32_e32 v139, v131
	v_pk_add_f32 v[142:143], v[138:139], v[4:5]
	v_pk_mul_f32 v[138:139], v[114:115], s[38:39] op_sel_hi:[1,0]
	v_pk_fma_f32 v[240:241], v[108:109], s[6:7], v[238:239] op_sel:[0,0,1] op_sel_hi:[1,0,0]
	v_pk_fma_f32 v[140:141], v[108:109], s[36:37], v[138:139] op_sel:[0,0,1] op_sel_hi:[1,0,0]
	v_pk_fma_f32 v[138:139], v[108:109], s[36:37], v[138:139] op_sel:[0,0,1] op_sel_hi:[1,0,0] neg_lo:[0,0,1] neg_hi:[0,0,1]
	v_mov_b32_e32 v144, v140
	v_mov_b32_e32 v145, v139
	v_pk_add_f32 v[146:147], v[144:145], v[142:143]
	v_pk_mul_f32 v[144:145], v[112:113], s[50:51] op_sel_hi:[1,0]
	v_pk_fma_f32 v[238:239], v[108:109], s[6:7], v[238:239] op_sel:[0,0,1] op_sel_hi:[1,0,0] neg_lo:[0,0,1] neg_hi:[0,0,1]
	v_pk_fma_f32 v[142:143], v[106:107], s[20:21], v[144:145] op_sel:[0,0,1] op_sel_hi:[1,0,0]
	v_pk_fma_f32 v[144:145], v[106:107], s[20:21], v[144:145] op_sel:[0,0,1] op_sel_hi:[1,0,0] neg_lo:[0,0,1] neg_hi:[0,0,1]
	v_mov_b32_e32 v148, v142
	v_mov_b32_e32 v149, v145
	v_pk_add_f32 v[150:151], v[148:149], v[146:147]
	v_pk_mul_f32 v[148:149], v[118:119], s[46:47] op_sel_hi:[1,0]
	v_mov_b32_e32 v242, v240
	v_pk_fma_f32 v[146:147], v[110:111], s[8:9], v[148:149] op_sel:[0,0,1] op_sel_hi:[1,0,0]
	v_pk_fma_f32 v[148:149], v[110:111], s[8:9], v[148:149] op_sel:[0,0,1] op_sel_hi:[1,0,0] neg_lo:[0,0,1] neg_hi:[0,0,1]
	v_mov_b32_e32 v152, v146
	v_mov_b32_e32 v153, v149
	v_pk_add_f32 v[154:155], v[152:153], v[150:151]
	v_pk_mul_f32 v[152:153], v[122:123], s[44:45] op_sel_hi:[1,0]
	v_mov_b32_e32 v243, v239
	v_pk_fma_f32 v[150:151], v[116:117], s[6:7], v[152:153] op_sel:[0,0,1] op_sel_hi:[1,0,0]
	v_pk_fma_f32 v[152:153], v[116:117], s[6:7], v[152:153] op_sel:[0,0,1] op_sel_hi:[1,0,0] neg_lo:[0,0,1] neg_hi:[0,0,1]
	v_mov_b32_e32 v156, v150
	v_mov_b32_e32 v157, v153
	v_pk_add_f32 v[158:159], v[156:157], v[154:155]
	v_pk_mul_f32 v[156:157], v[126:127], s[34:35] op_sel_hi:[1,0]
	v_accvgpr_write_b32 a1, v7
	v_pk_fma_f32 v[154:155], v[120:121], s[30:31], v[156:157] op_sel:[0,0,1] op_sel_hi:[1,0,0]
	v_pk_fma_f32 v[156:157], v[120:121], s[30:31], v[156:157] op_sel:[0,0,1] op_sel_hi:[1,0,0] neg_lo:[0,0,1] neg_hi:[0,0,1]
	v_mov_b32_e32 v160, v154
	v_mov_b32_e32 v161, v157
	v_pk_add_f32 v[162:163], v[160:161], v[158:159]
	v_pk_mul_f32 v[160:161], v[132:133], s[56:57] op_sel_hi:[1,0]
	v_mov_b32_e32 v239, v241
	v_pk_fma_f32 v[158:159], v[124:125], s[24:25], v[160:161] op_sel:[0,0,1] op_sel_hi:[1,0,0]
	v_pk_fma_f32 v[160:161], v[124:125], s[24:25], v[160:161] op_sel:[0,0,1] op_sel_hi:[1,0,0] neg_lo:[0,0,1] neg_hi:[0,0,1]
	v_mov_b32_e32 v164, v158
	v_mov_b32_e32 v165, v161
	v_pk_add_f32 v[166:167], v[164:165], v[162:163]
	v_pk_mul_f32 v[164:165], v[134:135], s[48:49] op_sel_hi:[1,0]
	v_mov_b32_e32 v205, v207
	;; [unrolled: 7-line block ×10, first 2 shown]
	v_pk_fma_f32 v[200:201], v[128:129], s[24:25], v[198:199] op_sel:[0,0,1] op_sel_hi:[1,0,0]
	v_pk_fma_f32 v[198:199], v[128:129], s[24:25], v[198:199] op_sel:[0,0,1] op_sel_hi:[1,0,0] neg_lo:[0,0,1] neg_hi:[0,0,1]
	v_mov_b32_e32 v202, v200
	v_mov_b32_e32 v203, v199
	v_pk_add_f32 v[196:197], v[202:203], v[196:197]
	ds_write2_b64 v83, v[194:195], v[196:197] offset0:68 offset1:85
	v_pk_mul_f32 v[194:195], v[104:105], s[26:27] op_sel_hi:[1,0]
	v_mov_b32_e32 v185, v183
	v_pk_fma_f32 v[196:197], v[102:103], s[24:25], v[194:195] op_sel:[0,0,1] op_sel_hi:[1,0,0]
	v_pk_fma_f32 v[194:195], v[102:103], s[24:25], v[194:195] op_sel:[0,0,1] op_sel_hi:[1,0,0] neg_lo:[0,0,1] neg_hi:[0,0,1]
	v_mov_b32_e32 v202, v196
	v_mov_b32_e32 v203, v195
	v_pk_add_f32 v[202:203], v[202:203], v[4:5]
	v_mov_b32_e32 v195, v197
	v_pk_add_f32 v[202:203], v[208:209], v[202:203]
	v_pk_mul_f32 v[208:209], v[112:113], s[10:11] op_sel_hi:[1,0]
	v_mov_b32_e32 v153, v151
	v_pk_fma_f32 v[210:211], v[106:107], s[8:9], v[208:209] op_sel:[0,0,1] op_sel_hi:[1,0,0]
	v_pk_fma_f32 v[208:209], v[106:107], s[8:9], v[208:209] op_sel:[0,0,1] op_sel_hi:[1,0,0] neg_lo:[0,0,1] neg_hi:[0,0,1]
	v_mov_b32_e32 v212, v210
	v_mov_b32_e32 v213, v209
	v_pk_add_f32 v[202:203], v[212:213], v[202:203]
	v_pk_mul_f32 v[212:213], v[118:119], s[34:35] op_sel_hi:[1,0]
	v_mov_b32_e32 v209, v211
	v_pk_fma_f32 v[214:215], v[110:111], s[30:31], v[212:213] op_sel:[0,0,1] op_sel_hi:[1,0,0]
	v_pk_fma_f32 v[212:213], v[110:111], s[30:31], v[212:213] op_sel:[0,0,1] op_sel_hi:[1,0,0] neg_lo:[0,0,1] neg_hi:[0,0,1]
	v_mov_b32_e32 v216, v214
	v_mov_b32_e32 v217, v213
	v_pk_add_f32 v[202:203], v[216:217], v[202:203]
	v_pk_mul_f32 v[216:217], v[122:123], s[52:53] op_sel_hi:[1,0]
	v_mov_b32_e32 v213, v215
	v_pk_fma_f32 v[218:219], v[116:117], s[12:13], v[216:217] op_sel:[0,0,1] op_sel_hi:[1,0,0]
	v_pk_fma_f32 v[216:217], v[116:117], s[12:13], v[216:217] op_sel:[0,0,1] op_sel_hi:[1,0,0] neg_lo:[0,0,1] neg_hi:[0,0,1]
	v_mov_b32_e32 v220, v218
	v_mov_b32_e32 v221, v217
	v_pk_add_f32 v[202:203], v[220:221], v[202:203]
	v_pk_mul_f32 v[220:221], v[126:127], s[28:29] op_sel_hi:[1,0]
	v_mov_b32_e32 v217, v219
	v_pk_fma_f32 v[222:223], v[120:121], s[0:1], v[220:221] op_sel:[0,0,1] op_sel_hi:[1,0,0]
	v_pk_fma_f32 v[220:221], v[120:121], s[0:1], v[220:221] op_sel:[0,0,1] op_sel_hi:[1,0,0] neg_lo:[0,0,1] neg_hi:[0,0,1]
	v_mov_b32_e32 v224, v222
	v_mov_b32_e32 v225, v221
	v_pk_add_f32 v[202:203], v[224:225], v[202:203]
	v_pk_mul_f32 v[224:225], v[132:133], s[38:39] op_sel_hi:[1,0]
	v_mov_b32_e32 v221, v223
	v_pk_fma_f32 v[226:227], v[124:125], s[36:37], v[224:225] op_sel:[0,0,1] op_sel_hi:[1,0,0]
	v_pk_fma_f32 v[224:225], v[124:125], s[36:37], v[224:225] op_sel:[0,0,1] op_sel_hi:[1,0,0] neg_lo:[0,0,1] neg_hi:[0,0,1]
	v_mov_b32_e32 v228, v226
	v_mov_b32_e32 v229, v225
	v_pk_add_f32 v[202:203], v[228:229], v[202:203]
	v_pk_mul_f32 v[228:229], v[134:135], s[42:43] op_sel_hi:[1,0]
	v_mov_b32_e32 v225, v227
	v_pk_fma_f32 v[230:231], v[128:129], s[6:7], v[228:229] op_sel:[0,0,1] op_sel_hi:[1,0,0]
	v_pk_fma_f32 v[228:229], v[128:129], s[6:7], v[228:229] op_sel:[0,0,1] op_sel_hi:[1,0,0] neg_lo:[0,0,1] neg_hi:[0,0,1]
	v_mov_b32_e32 v232, v230
	v_mov_b32_e32 v233, v229
	v_pk_add_f32 v[202:203], v[232:233], v[202:203]
	v_pk_mul_f32 v[232:233], v[104:105], s[34:35] op_sel_hi:[1,0]
	v_mov_b32_e32 v229, v231
	v_pk_fma_f32 v[234:235], v[102:103], s[30:31], v[232:233] op_sel:[0,0,1] op_sel_hi:[1,0,0]
	v_pk_fma_f32 v[232:233], v[102:103], s[30:31], v[232:233] op_sel:[0,0,1] op_sel_hi:[1,0,0] neg_lo:[0,0,1] neg_hi:[0,0,1]
	v_mov_b32_e32 v236, v234
	v_mov_b32_e32 v237, v233
	v_pk_add_f32 v[236:237], v[236:237], v[4:5]
	v_mov_b32_e32 v233, v235
	v_pk_add_f32 v[236:237], v[242:243], v[236:237]
	v_pk_mul_f32 v[242:243], v[112:113], s[40:41] op_sel_hi:[1,0]
	v_pk_mul_f32 v[112:113], v[112:113], s[34:35] op_sel_hi:[1,0]
	v_pk_fma_f32 v[244:245], v[106:107], s[12:13], v[242:243] op_sel:[0,0,1] op_sel_hi:[1,0,0]
	v_pk_fma_f32 v[242:243], v[106:107], s[12:13], v[242:243] op_sel:[0,0,1] op_sel_hi:[1,0,0] neg_lo:[0,0,1] neg_hi:[0,0,1]
	v_mov_b32_e32 v246, v244
	v_mov_b32_e32 v247, v243
	v_pk_add_f32 v[236:237], v[246:247], v[236:237]
	v_pk_mul_f32 v[246:247], v[118:119], s[56:57] op_sel_hi:[1,0]
	v_mov_b32_e32 v243, v245
	v_pk_fma_f32 v[248:249], v[110:111], s[24:25], v[246:247] op_sel:[0,0,1] op_sel_hi:[1,0,0]
	v_pk_fma_f32 v[246:247], v[110:111], s[24:25], v[246:247] op_sel:[0,0,1] op_sel_hi:[1,0,0] neg_lo:[0,0,1] neg_hi:[0,0,1]
	v_mov_b32_e32 v250, v248
	v_mov_b32_e32 v251, v247
	v_pk_add_f32 v[236:237], v[250:251], v[236:237]
	v_pk_mul_f32 v[250:251], v[122:123], s[10:11] op_sel_hi:[1,0]
	v_mov_b32_e32 v247, v249
	;; [unrolled: 7-line block ×5, first 2 shown]
	v_pk_fma_f32 v[10:11], v[128:129], s[20:21], v[6:7] op_sel:[0,0,1] op_sel_hi:[1,0,0]
	v_pk_fma_f32 v[6:7], v[128:129], s[20:21], v[6:7] op_sel:[0,0,1] op_sel_hi:[1,0,0] neg_lo:[0,0,1] neg_hi:[0,0,1]
	v_mov_b32_e32 v8, v10
	v_mov_b32_e32 v9, v7
	v_pk_add_f32 v[0:1], v[8:9], v[0:1]
	ds_write2_b64 v83, v[202:203], v[0:1] offset0:102 offset1:119
	v_pk_mul_f32 v[0:1], v[104:105], s[38:39] op_sel_hi:[1,0]
	v_mov_b32_e32 v7, v11
	v_pk_fma_f32 v[8:9], v[102:103], s[36:37], v[0:1] op_sel:[0,0,1] op_sel_hi:[1,0,0]
	v_pk_fma_f32 v[0:1], v[102:103], s[36:37], v[0:1] op_sel:[0,0,1] op_sel_hi:[1,0,0] neg_lo:[0,0,1] neg_hi:[0,0,1]
	v_pk_mul_f32 v[102:103], v[114:115], s[46:47] op_sel_hi:[1,0]
	v_mov_b32_e32 v189, v187
	v_pk_fma_f32 v[104:105], v[108:109], s[8:9], v[102:103] op_sel:[0,0,1] op_sel_hi:[1,0,0]
	v_pk_fma_f32 v[102:103], v[108:109], s[8:9], v[102:103] op_sel:[0,0,1] op_sel_hi:[1,0,0] neg_lo:[0,0,1] neg_hi:[0,0,1]
	v_mov_b32_e32 v108, v8
	v_mov_b32_e32 v109, v1
	v_pk_add_f32 v[108:109], v[108:109], v[4:5]
	v_mov_b32_e32 v114, v104
	v_mov_b32_e32 v115, v103
	v_pk_add_f32 v[108:109], v[114:115], v[108:109]
	v_pk_fma_f32 v[114:115], v[106:107], s[30:31], v[112:113] op_sel:[0,0,1] op_sel_hi:[1,0,0]
	v_pk_fma_f32 v[106:107], v[106:107], s[30:31], v[112:113] op_sel:[0,0,1] op_sel_hi:[1,0,0] neg_lo:[0,0,1] neg_hi:[0,0,1]
	v_mov_b32_e32 v112, v114
	v_mov_b32_e32 v113, v107
	v_pk_add_f32 v[108:109], v[112:113], v[108:109]
	v_pk_mul_f32 v[112:113], v[118:119], s[48:49] op_sel_hi:[1,0]
	v_mov_b32_e32 v1, v9
	v_pk_fma_f32 v[118:119], v[110:111], s[0:1], v[112:113] op_sel:[0,0,1] op_sel_hi:[1,0,0]
	v_pk_fma_f32 v[110:111], v[110:111], s[0:1], v[112:113] op_sel:[0,0,1] op_sel_hi:[1,0,0] neg_lo:[0,0,1] neg_hi:[0,0,1]
	v_mov_b32_e32 v112, v118
	v_mov_b32_e32 v113, v111
	v_pk_add_f32 v[108:109], v[112:113], v[108:109]
	v_pk_mul_f32 v[112:113], v[122:123], s[26:27] op_sel_hi:[1,0]
	v_mov_b32_e32 v103, v105
	v_pk_fma_f32 v[122:123], v[116:117], s[24:25], v[112:113] op_sel:[0,0,1] op_sel_hi:[1,0,0]
	v_pk_fma_f32 v[112:113], v[116:117], s[24:25], v[112:113] op_sel:[0,0,1] op_sel_hi:[1,0,0] neg_lo:[0,0,1] neg_hi:[0,0,1]
	v_mov_b32_e32 v116, v122
	v_mov_b32_e32 v117, v113
	v_pk_add_f32 v[108:109], v[116:117], v[108:109]
	v_pk_mul_f32 v[116:117], v[126:127], s[42:43] op_sel_hi:[1,0]
	v_pk_add_f32 v[0:1], v[0:1], v[4:5]
	v_pk_fma_f32 v[126:127], v[120:121], s[6:7], v[116:117] op_sel:[0,0,1] op_sel_hi:[1,0,0]
	v_pk_fma_f32 v[116:117], v[120:121], s[6:7], v[116:117] op_sel:[0,0,1] op_sel_hi:[1,0,0] neg_lo:[0,0,1] neg_hi:[0,0,1]
	v_mov_b32_e32 v120, v126
	v_mov_b32_e32 v121, v117
	v_pk_add_f32 v[108:109], v[120:121], v[108:109]
	v_pk_mul_f32 v[120:121], v[132:133], s[22:23] op_sel_hi:[1,0]
	v_pk_add_f32 v[0:1], v[102:103], v[0:1]
	v_mov_b32_e32 v107, v115
	v_pk_fma_f32 v[132:133], v[124:125], s[20:21], v[120:121] op_sel:[0,0,1] op_sel_hi:[1,0,0]
	v_pk_fma_f32 v[120:121], v[124:125], s[20:21], v[120:121] op_sel:[0,0,1] op_sel_hi:[1,0,0] neg_lo:[0,0,1] neg_hi:[0,0,1]
	v_pk_add_f32 v[0:1], v[106:107], v[0:1]
	v_mov_b32_e32 v111, v119
	v_mov_b32_e32 v124, v132
	;; [unrolled: 1-line block ×3, first 2 shown]
	v_pk_add_f32 v[0:1], v[110:111], v[0:1]
	v_mov_b32_e32 v113, v123
	v_pk_add_f32 v[108:109], v[124:125], v[108:109]
	v_pk_mul_f32 v[124:125], v[134:135], s[52:53] op_sel_hi:[1,0]
	v_pk_add_f32 v[0:1], v[112:113], v[0:1]
	v_mov_b32_e32 v117, v127
	v_pk_fma_f32 v[134:135], v[128:129], s[12:13], v[124:125] op_sel:[0,0,1] op_sel_hi:[1,0,0]
	v_pk_fma_f32 v[124:125], v[128:129], s[12:13], v[124:125] op_sel:[0,0,1] op_sel_hi:[1,0,0] neg_lo:[0,0,1] neg_hi:[0,0,1]
	v_pk_add_f32 v[0:1], v[116:117], v[0:1]
	v_mov_b32_e32 v121, v133
	v_mov_b32_e32 v128, v134
	;; [unrolled: 1-line block ×3, first 2 shown]
	v_pk_add_f32 v[0:1], v[120:121], v[0:1]
	v_mov_b32_e32 v125, v135
	v_pk_add_f32 v[108:109], v[128:129], v[108:109]
	v_pk_add_f32 v[0:1], v[124:125], v[0:1]
	ds_write2_b64 v83, v[108:109], v[0:1] offset0:136 offset1:153
	v_pk_add_f32 v[0:1], v[232:233], v[4:5]
	v_mov_b32_e32 v157, v155
	v_pk_add_f32 v[0:1], v[238:239], v[0:1]
	v_mov_b32_e32 v193, v191
	;; [unrolled: 2-line block ×7, first 2 shown]
	v_pk_add_f32 v[0:1], v[6:7], v[0:1]
	v_pk_add_f32 v[6:7], v[194:195], v[4:5]
	v_mov_b32_e32 v75, v77
	v_pk_add_f32 v[6:7], v[204:205], v[6:7]
	v_mov_b32_e32 v43, v45
	;; [unrolled: 2-line block ×7, first 2 shown]
	v_pk_add_f32 v[6:7], v[228:229], v[6:7]
	ds_write2_b64 v83, v[0:1], v[6:7] offset0:170 offset1:187
	v_pk_add_f32 v[0:1], v[166:167], v[4:5]
	v_pk_add_f32 v[6:7], v[130:131], v[4:5]
	;; [unrolled: 1-line block ×16, first 2 shown]
	ds_write2_b64 v83, v[0:1], v[6:7] offset0:204 offset1:221
	v_pk_add_f32 v[0:1], v[70:71], v[4:5]
	v_pk_add_f32 v[6:7], v[38:39], v[4:5]
	;; [unrolled: 1-line block ×8, first 2 shown]
	v_mov_b32_e32 v55, v53
	v_pk_add_f32 v[0:1], v[88:89], v[0:1]
	v_mov_b32_e32 v93, v91
	v_pk_add_f32 v[6:7], v[54:55], v[6:7]
	;; [unrolled: 2-line block ×7, first 2 shown]
	v_pk_add_f32 v[6:7], v[68:69], v[6:7]
	v_accvgpr_read_b32 v73, a1
	ds_write2_b64 v83, v[0:1], v[6:7] offset0:238 offset1:255
	v_pk_add_f32 v[0:1], v[72:73], v[4:5]
	v_accvgpr_read_b32 v49, a3
	v_pk_add_f32 v[0:1], v[48:49], v[0:1]
	v_accvgpr_read_b32 v17, a5
	;; [unrolled: 2-line block ×5, first 2 shown]
	v_pk_add_f32 v[0:1], v[28:29], v[0:1]
	v_mov_b32_e32 v33, v31
	v_pk_add_f32 v[0:1], v[32:33], v[0:1]
	v_mov_b32_e32 v37, v35
	v_pk_add_f32 v[0:1], v[36:37], v[0:1]
	ds_write_b64 v83, v[0:1] offset:2176
	v_mul_u32_u24_e32 v0, 0x2493, v82
	v_lshrrev_b32_e32 v6, 16, v0
	v_mul_lo_u16_e32 v0, 7, v6
	v_sub_u16_e32 v7, v82, v0
	v_mad_u64_u32 v[0:1], s[4:5], s16, v7, 0
	s_mul_i32 s0, s16, s27
	v_mov_b32_e32 v2, v1
	v_mad_u64_u32 v[4:5], s[4:5], s17, v7, v[2:3]
	s_lshl_b64 s[0:1], s[0:1], 3
	s_mul_i32 s8, s25, s18
	s_add_u32 s4, s14, s0
	s_addc_u32 s5, s15, s1
	s_lshl_b64 s[0:1], s[8:9], 3
	s_add_u32 s4, s4, s0
	v_mov_b32_e32 v1, v4
	v_mul_lo_u16_e32 v4, 0x122, v7
	s_addc_u32 s5, s5, s1
	s_lshl_b64 s[0:1], s[2:3], 3
	v_mul_lo_u32 v2, s19, v6
	v_lshlrev_b32_e32 v7, 3, v4
	v_lshlrev_b32_e32 v6, 3, v6
	s_add_u32 s0, s4, s0
	v_add3_u32 v4, 0, v7, v6
	s_addc_u32 s1, s5, s1
	s_waitcnt lgkmcnt(0)
	s_barrier
	ds_read_b64 v[10:11], v4
	v_lshl_add_u64 v[4:5], v[0:1], 3, s[0:1]
	v_add3_u32 v1, 0, v6, v7
	ds_read2_b64 v[6:9], v1 offset0:17 offset1:34
	s_mul_i32 s19, s19, 17
	v_lshl_add_u64 v[12:13], v[2:3], 3, v[4:5]
	v_add_u32_e32 v2, s19, v2
	s_waitcnt lgkmcnt(1)
	global_store_dwordx2 v[12:13], v[10:11], off
	v_lshl_add_u64 v[10:11], v[2:3], 3, v[4:5]
	s_waitcnt lgkmcnt(0)
	global_store_dwordx2 v[10:11], v[6:7], off
	ds_read2_b64 v[10:13], v1 offset0:51 offset1:68
	v_add_u32_e32 v2, s19, v2
	v_lshl_add_u64 v[6:7], v[2:3], 3, v[4:5]
	v_add_u32_e32 v2, s19, v2
	global_store_dwordx2 v[6:7], v[8:9], off
	v_lshl_add_u64 v[6:7], v[2:3], 3, v[4:5]
	s_waitcnt lgkmcnt(0)
	global_store_dwordx2 v[6:7], v[10:11], off
	ds_read2_b64 v[6:9], v1 offset0:85 offset1:102
	v_add_u32_e32 v2, s19, v2
	v_lshl_add_u64 v[10:11], v[2:3], 3, v[4:5]
	v_add_u32_e32 v2, s19, v2
	;; [unrolled: 8-line block ×6, first 2 shown]
	global_store_dwordx2 v[10:11], v[12:13], off
	v_lshl_add_u64 v[10:11], v[2:3], 3, v[4:5]
	v_add_u32_e32 v0, 0x400, v1
	s_waitcnt lgkmcnt(0)
	global_store_dwordx2 v[10:11], v[6:7], off
	ds_read2_b64 v[10:13], v0 offset0:127 offset1:144
	v_add_u32_e32 v2, s19, v2
	v_lshl_add_u64 v[6:7], v[2:3], 3, v[4:5]
	v_add_u32_e32 v2, s19, v2
	global_store_dwordx2 v[6:7], v[8:9], off
	v_lshl_add_u64 v[6:7], v[2:3], 3, v[4:5]
	v_add_u32_e32 v2, s19, v2
	s_waitcnt lgkmcnt(0)
	global_store_dwordx2 v[6:7], v[10:11], off
	v_lshl_add_u64 v[6:7], v[2:3], 3, v[4:5]
	global_store_dwordx2 v[6:7], v[12:13], off
	s_and_saveexec_b64 s[0:1], vcc
	s_cbranch_execz .LBB0_2
; %bb.1:
	ds_read_b64 v[0:1], v1 offset:2312
	v_add_u32_e32 v2, s19, v2
	v_lshl_add_u64 v[2:3], v[2:3], 3, v[4:5]
	s_waitcnt lgkmcnt(0)
	global_store_dwordx2 v[2:3], v[0:1], off
.LBB0_2:
	s_endpgm
	.section	.rodata,"a",@progbits
	.p2align	6, 0x0
	.amdhsa_kernel fft_rtc_back_len289_factors_17_17_wgs_119_tpt_17_sp_op_CI_CI_sbrc_erc_z_xy_aligned_dirReg
		.amdhsa_group_segment_fixed_size 0
		.amdhsa_private_segment_fixed_size 0
		.amdhsa_kernarg_size 104
		.amdhsa_user_sgpr_count 2
		.amdhsa_user_sgpr_dispatch_ptr 0
		.amdhsa_user_sgpr_queue_ptr 0
		.amdhsa_user_sgpr_kernarg_segment_ptr 1
		.amdhsa_user_sgpr_dispatch_id 0
		.amdhsa_user_sgpr_kernarg_preload_length 0
		.amdhsa_user_sgpr_kernarg_preload_offset 0
		.amdhsa_user_sgpr_private_segment_size 0
		.amdhsa_uses_dynamic_stack 0
		.amdhsa_enable_private_segment 0
		.amdhsa_system_sgpr_workgroup_id_x 1
		.amdhsa_system_sgpr_workgroup_id_y 0
		.amdhsa_system_sgpr_workgroup_id_z 0
		.amdhsa_system_sgpr_workgroup_info 0
		.amdhsa_system_vgpr_workitem_id 0
		.amdhsa_next_free_vgpr 268
		.amdhsa_next_free_sgpr 60
		.amdhsa_accum_offset 256
		.amdhsa_reserve_vcc 1
		.amdhsa_float_round_mode_32 0
		.amdhsa_float_round_mode_16_64 0
		.amdhsa_float_denorm_mode_32 3
		.amdhsa_float_denorm_mode_16_64 3
		.amdhsa_dx10_clamp 1
		.amdhsa_ieee_mode 1
		.amdhsa_fp16_overflow 0
		.amdhsa_tg_split 0
		.amdhsa_exception_fp_ieee_invalid_op 0
		.amdhsa_exception_fp_denorm_src 0
		.amdhsa_exception_fp_ieee_div_zero 0
		.amdhsa_exception_fp_ieee_overflow 0
		.amdhsa_exception_fp_ieee_underflow 0
		.amdhsa_exception_fp_ieee_inexact 0
		.amdhsa_exception_int_div_zero 0
	.end_amdhsa_kernel
	.text
.Lfunc_end0:
	.size	fft_rtc_back_len289_factors_17_17_wgs_119_tpt_17_sp_op_CI_CI_sbrc_erc_z_xy_aligned_dirReg, .Lfunc_end0-fft_rtc_back_len289_factors_17_17_wgs_119_tpt_17_sp_op_CI_CI_sbrc_erc_z_xy_aligned_dirReg
                                        ; -- End function
	.section	.AMDGPU.csdata,"",@progbits
; Kernel info:
; codeLenInByte = 11692
; NumSgprs: 66
; NumVgprs: 256
; NumAgprs: 12
; TotalNumVgprs: 268
; ScratchSize: 0
; MemoryBound: 0
; FloatMode: 240
; IeeeMode: 1
; LDSByteSize: 0 bytes/workgroup (compile time only)
; SGPRBlocks: 8
; VGPRBlocks: 33
; NumSGPRsForWavesPerEU: 66
; NumVGPRsForWavesPerEU: 268
; AccumOffset: 256
; Occupancy: 1
; WaveLimiterHint : 1
; COMPUTE_PGM_RSRC2:SCRATCH_EN: 0
; COMPUTE_PGM_RSRC2:USER_SGPR: 2
; COMPUTE_PGM_RSRC2:TRAP_HANDLER: 0
; COMPUTE_PGM_RSRC2:TGID_X_EN: 1
; COMPUTE_PGM_RSRC2:TGID_Y_EN: 0
; COMPUTE_PGM_RSRC2:TGID_Z_EN: 0
; COMPUTE_PGM_RSRC2:TIDIG_COMP_CNT: 0
; COMPUTE_PGM_RSRC3_GFX90A:ACCUM_OFFSET: 63
; COMPUTE_PGM_RSRC3_GFX90A:TG_SPLIT: 0
	.text
	.p2alignl 6, 3212836864
	.fill 256, 4, 3212836864
	.type	__hip_cuid_375f66d4e693163c,@object ; @__hip_cuid_375f66d4e693163c
	.section	.bss,"aw",@nobits
	.globl	__hip_cuid_375f66d4e693163c
__hip_cuid_375f66d4e693163c:
	.byte	0                               ; 0x0
	.size	__hip_cuid_375f66d4e693163c, 1

	.ident	"AMD clang version 19.0.0git (https://github.com/RadeonOpenCompute/llvm-project roc-6.4.0 25133 c7fe45cf4b819c5991fe208aaa96edf142730f1d)"
	.section	".note.GNU-stack","",@progbits
	.addrsig
	.addrsig_sym __hip_cuid_375f66d4e693163c
	.amdgpu_metadata
---
amdhsa.kernels:
  - .agpr_count:     12
    .args:
      - .actual_access:  read_only
        .address_space:  global
        .offset:         0
        .size:           8
        .value_kind:     global_buffer
      - .offset:         8
        .size:           8
        .value_kind:     by_value
      - .actual_access:  read_only
        .address_space:  global
        .offset:         16
        .size:           8
        .value_kind:     global_buffer
      - .actual_access:  read_only
        .address_space:  global
        .offset:         24
        .size:           8
        .value_kind:     global_buffer
      - .actual_access:  read_only
        .address_space:  global
        .offset:         32
        .size:           8
        .value_kind:     global_buffer
      - .offset:         40
        .size:           8
        .value_kind:     by_value
      - .actual_access:  read_only
        .address_space:  global
        .offset:         48
        .size:           8
        .value_kind:     global_buffer
      - .actual_access:  read_only
        .address_space:  global
        .offset:         56
        .size:           8
        .value_kind:     global_buffer
      - .offset:         64
        .size:           4
        .value_kind:     by_value
      - .actual_access:  read_only
        .address_space:  global
        .offset:         72
        .size:           8
        .value_kind:     global_buffer
      - .actual_access:  read_only
        .address_space:  global
        .offset:         80
        .size:           8
        .value_kind:     global_buffer
      - .actual_access:  read_only
        .address_space:  global
        .offset:         88
        .size:           8
        .value_kind:     global_buffer
      - .actual_access:  write_only
        .address_space:  global
        .offset:         96
        .size:           8
        .value_kind:     global_buffer
    .group_segment_fixed_size: 0
    .kernarg_segment_align: 8
    .kernarg_segment_size: 104
    .language:       OpenCL C
    .language_version:
      - 2
      - 0
    .max_flat_workgroup_size: 119
    .name:           fft_rtc_back_len289_factors_17_17_wgs_119_tpt_17_sp_op_CI_CI_sbrc_erc_z_xy_aligned_dirReg
    .private_segment_fixed_size: 0
    .sgpr_count:     66
    .sgpr_spill_count: 0
    .symbol:         fft_rtc_back_len289_factors_17_17_wgs_119_tpt_17_sp_op_CI_CI_sbrc_erc_z_xy_aligned_dirReg.kd
    .uniform_work_group_size: 1
    .uses_dynamic_stack: false
    .vgpr_count:     268
    .vgpr_spill_count: 0
    .wavefront_size: 64
amdhsa.target:   amdgcn-amd-amdhsa--gfx950
amdhsa.version:
  - 1
  - 2
...

	.end_amdgpu_metadata
